;; amdgpu-corpus repo=ROCm/rocFFT kind=compiled arch=gfx1201 opt=O3
	.text
	.amdgcn_target "amdgcn-amd-amdhsa--gfx1201"
	.amdhsa_code_object_version 6
	.protected	bluestein_single_fwd_len650_dim1_half_op_CI_CI ; -- Begin function bluestein_single_fwd_len650_dim1_half_op_CI_CI
	.globl	bluestein_single_fwd_len650_dim1_half_op_CI_CI
	.p2align	8
	.type	bluestein_single_fwd_len650_dim1_half_op_CI_CI,@function
bluestein_single_fwd_len650_dim1_half_op_CI_CI: ; @bluestein_single_fwd_len650_dim1_half_op_CI_CI
; %bb.0:
	s_load_b128 s[12:15], s[0:1], 0x28
	v_mul_u32_u24_e32 v1, 0x3f1, v0
	s_mov_b32 s2, exec_lo
	s_delay_alu instid0(VALU_DEP_1) | instskip(NEXT) | instid1(VALU_DEP_1)
	v_lshrrev_b32_e32 v1, 16, v1
	v_mad_co_u64_u32 v[20:21], null, ttmp9, 3, v[1:2]
	v_mov_b32_e32 v21, 0
	s_wait_kmcnt 0x0
	s_delay_alu instid0(VALU_DEP_1)
	v_cmpx_gt_u64_e64 s[12:13], v[20:21]
	s_cbranch_execz .LBB0_10
; %bb.1:
	s_clause 0x1
	s_load_b128 s[4:7], s[0:1], 0x18
	s_load_b128 s[8:11], s[0:1], 0x0
	v_mul_lo_u16 v1, 0x41, v1
                                        ; implicit-def: $vgpr111
                                        ; implicit-def: $vgpr112
                                        ; implicit-def: $vgpr110
                                        ; implicit-def: $vgpr113
	s_delay_alu instid0(VALU_DEP_1) | instskip(NEXT) | instid1(VALU_DEP_1)
	v_sub_nc_u16 v8, v0, v1
	v_and_b32_e32 v49, 0xffff, v8
	v_add_nc_u16 v14, v8, 0x41
	s_delay_alu instid0(VALU_DEP_2) | instskip(NEXT) | instid1(VALU_DEP_2)
	v_lshlrev_b32_e32 v60, 2, v49
	v_and_b32_e32 v9, 0xff, v14
	s_wait_kmcnt 0x0
	s_load_b128 s[16:19], s[4:5], 0x0
	s_clause 0x9
	global_load_b32 v52, v60, s[8:9]
	global_load_b32 v53, v60, s[8:9] offset:260
	global_load_b32 v51, v60, s[8:9] offset:520
	;; [unrolled: 1-line block ×9, first 2 shown]
	v_mul_lo_u16 v9, 0xcd, v9
	s_delay_alu instid0(VALU_DEP_1) | instskip(NEXT) | instid1(VALU_DEP_1)
	v_lshrrev_b16 v16, 11, v9
	v_mul_lo_u16 v18, v16, 10
	s_wait_kmcnt 0x0
	v_mad_co_u64_u32 v[0:1], null, s18, v20, 0
	v_mad_co_u64_u32 v[2:3], null, s16, v49, 0
	s_mul_u64 s[2:3], s[16:17], 0x104
	s_delay_alu instid0(VALU_DEP_1) | instskip(NEXT) | instid1(VALU_DEP_1)
	v_mad_co_u64_u32 v[4:5], null, s19, v20, v[1:2]
	v_mad_co_u64_u32 v[5:6], null, s17, v49, v[3:4]
	v_mov_b32_e32 v1, v4
	s_delay_alu instid0(VALU_DEP_1) | instskip(NEXT) | instid1(VALU_DEP_3)
	v_lshlrev_b64_e32 v[0:1], 2, v[0:1]
	v_mov_b32_e32 v3, v5
	s_delay_alu instid0(VALU_DEP_2) | instskip(NEXT) | instid1(VALU_DEP_2)
	v_add_co_u32 v0, vcc_lo, s14, v0
	v_lshlrev_b64_e32 v[2:3], 2, v[2:3]
	s_delay_alu instid0(VALU_DEP_4) | instskip(NEXT) | instid1(VALU_DEP_2)
	v_add_co_ci_u32_e32 v1, vcc_lo, s15, v1, vcc_lo
	v_add_co_u32 v0, vcc_lo, v0, v2
	s_wait_alu 0xfffd
	s_delay_alu instid0(VALU_DEP_2) | instskip(NEXT) | instid1(VALU_DEP_2)
	v_add_co_ci_u32_e32 v1, vcc_lo, v1, v3, vcc_lo
	v_add_co_u32 v2, vcc_lo, v0, s2
	s_wait_alu 0xfffd
	s_delay_alu instid0(VALU_DEP_2)
	v_add_co_ci_u32_e32 v3, vcc_lo, s3, v1, vcc_lo
	s_clause 0x1
	global_load_b32 v4, v[0:1], off
	global_load_b32 v5, v[2:3], off
	v_add_co_u32 v0, vcc_lo, v2, s2
	s_wait_alu 0xfffd
	v_add_co_ci_u32_e32 v1, vcc_lo, s3, v3, vcc_lo
	s_delay_alu instid0(VALU_DEP_2) | instskip(SKIP_1) | instid1(VALU_DEP_2)
	v_add_co_u32 v2, vcc_lo, v0, s2
	s_wait_alu 0xfffd
	v_add_co_ci_u32_e32 v3, vcc_lo, s3, v1, vcc_lo
	s_clause 0x1
	global_load_b32 v6, v[0:1], off
	global_load_b32 v7, v[2:3], off
	v_add_co_u32 v0, vcc_lo, v2, s2
	s_wait_alu 0xfffd
	v_add_co_ci_u32_e32 v1, vcc_lo, s3, v3, vcc_lo
	s_delay_alu instid0(VALU_DEP_2) | instskip(SKIP_1) | instid1(VALU_DEP_2)
	v_add_co_u32 v2, vcc_lo, v0, s2
	s_wait_alu 0xfffd
	v_add_co_ci_u32_e32 v3, vcc_lo, s3, v1, vcc_lo
	global_load_b32 v10, v[0:1], off
	v_add_co_u32 v0, vcc_lo, v2, s2
	s_wait_alu 0xfffd
	v_add_co_ci_u32_e32 v1, vcc_lo, s3, v3, vcc_lo
	global_load_b32 v11, v[2:3], off
	;; [unrolled: 4-line block ×5, first 2 shown]
	global_load_b32 v1, v[2:3], off
	v_mul_hi_u32 v2, 0xaaaaaaab, v20
	v_and_b32_e32 v3, 0xff, v8
	s_load_b128 s[4:7], s[6:7], 0x0
	v_cmp_gt_u16_e32 vcc_lo, 50, v8
	s_load_b64 s[2:3], s[0:1], 0x38
	s_delay_alu instid0(VALU_DEP_2) | instskip(NEXT) | instid1(VALU_DEP_4)
	v_mul_lo_u16 v3, 0xcd, v3
	v_lshrrev_b32_e32 v2, 1, v2
	s_delay_alu instid0(VALU_DEP_2) | instskip(NEXT) | instid1(VALU_DEP_2)
	v_lshrrev_b16 v15, 11, v3
	v_lshl_add_u32 v2, v2, 1, v2
	s_delay_alu instid0(VALU_DEP_2) | instskip(NEXT) | instid1(VALU_DEP_2)
	v_mul_lo_u16 v17, v15, 10
	v_sub_nc_u32_e32 v2, v20, v2
	s_delay_alu instid0(VALU_DEP_1) | instskip(NEXT) | instid1(VALU_DEP_1)
	v_mul_u32_u24_e32 v2, 0x28a, v2
	v_lshlrev_b32_e32 v59, 2, v2
	s_delay_alu instid0(VALU_DEP_1) | instskip(NEXT) | instid1(VALU_DEP_1)
	v_add_nc_u32_e32 v44, v60, v59
	v_add_nc_u32_e32 v9, 0x400, v44
	;; [unrolled: 1-line block ×3, first 2 shown]
	s_wait_loadcnt 0x13
	v_lshrrev_b32_e32 v58, 16, v52
	s_wait_loadcnt 0x12
	v_lshrrev_b32_e32 v57, 16, v53
	;; [unrolled: 2-line block ×8, first 2 shown]
	v_lshrrev_b32_e32 v45, 16, v39
	s_wait_loadcnt 0xa
	v_lshrrev_b32_e32 v40, 16, v37
	s_wait_loadcnt 0x9
	v_lshrrev_b32_e32 v2, 16, v4
	v_mul_f16_e32 v3, v58, v4
	s_wait_loadcnt 0x8
	v_lshrrev_b32_e32 v22, 16, v5
	v_mul_f16_e32 v23, v57, v5
	v_mul_f16_e32 v21, v58, v2
	v_fma_f16 v2, v52, v2, -v3
	s_delay_alu instid0(VALU_DEP_4) | instskip(NEXT) | instid1(VALU_DEP_4)
	v_mul_f16_e32 v3, v57, v22
	v_fma_f16 v22, v53, v22, -v23
	s_delay_alu instid0(VALU_DEP_4) | instskip(NEXT) | instid1(VALU_DEP_3)
	v_fmac_f16_e32 v21, v52, v4
	v_fmac_f16_e32 v3, v53, v5
	s_wait_loadcnt 0x7
	v_lshrrev_b32_e32 v4, 16, v6
	v_mul_f16_e32 v23, v56, v6
	v_pack_b32_f16 v2, v21, v2
	s_wait_loadcnt 0x6
	v_lshrrev_b32_e32 v21, 16, v7
	v_pack_b32_f16 v3, v3, v22
	v_mul_f16_e32 v5, v56, v4
	v_fma_f16 v4, v51, v4, -v23
	v_mul_f16_e32 v23, v55, v7
	s_delay_alu instid0(VALU_DEP_3)
	v_fmac_f16_e32 v5, v51, v6
	s_wait_loadcnt 0x5
	v_lshrrev_b32_e32 v22, 16, v10
	v_mul_f16_e32 v6, v55, v21
	v_mul_f16_e32 v24, v54, v10
	v_fma_f16 v21, v48, v21, -v23
	v_pack_b32_f16 v4, v5, v4
	v_mul_f16_e32 v5, v54, v22
	v_fmac_f16_e32 v6, v48, v7
	v_fma_f16 v7, v46, v22, -v24
	s_wait_loadcnt 0x4
	v_lshrrev_b32_e32 v22, 16, v11
	v_mul_f16_e32 v23, v50, v11
	v_fmac_f16_e32 v5, v46, v10
	s_wait_loadcnt 0x3
	v_lshrrev_b32_e32 v10, 16, v12
	v_pack_b32_f16 v6, v6, v21
	v_mul_f16_e32 v21, v50, v22
	v_fma_f16 v22, v43, v22, -v23
	v_mul_f16_e32 v23, v47, v12
	v_pack_b32_f16 v5, v5, v7
	v_mul_f16_e32 v7, v47, v10
	v_fmac_f16_e32 v21, v43, v11
	s_wait_loadcnt 0x2
	v_lshrrev_b32_e32 v11, 16, v13
	v_fma_f16 v10, v41, v10, -v23
	v_mul_f16_e32 v23, v45, v13
	v_fmac_f16_e32 v7, v41, v12
	s_wait_loadcnt 0x1
	v_lshrrev_b32_e32 v12, 16, v0
	s_wait_loadcnt 0x0
	v_lshrrev_b32_e32 v25, 16, v1
	v_mul_f16_e32 v24, v45, v11
	v_fma_f16 v11, v39, v11, -v23
	v_mul_f16_e32 v23, v42, v0
	v_mul_f16_e32 v26, v42, v12
	v_mul_f16_e32 v27, v40, v1
	v_mul_f16_e32 v28, v40, v25
	v_fmac_f16_e32 v24, v39, v13
	v_fma_f16 v12, v38, v12, -v23
	v_fmac_f16_e32 v26, v38, v0
	v_fma_f16 v0, v37, v25, -v27
	v_fmac_f16_e32 v28, v37, v1
	v_pack_b32_f16 v1, v21, v22
	v_pack_b32_f16 v7, v7, v10
	;; [unrolled: 1-line block ×5, first 2 shown]
	ds_store_2addr_b32 v44, v2, v3 offset1:65
	ds_store_2addr_b32 v44, v4, v6 offset0:130 offset1:195
	ds_store_2addr_b32 v9, v5, v1 offset0:4 offset1:69
	;; [unrolled: 1-line block ×4, first 2 shown]
	v_mul_lo_u16 v10, v8, 10
	global_wb scope:SCOPE_SE
	s_wait_dscnt 0x0
	s_wait_kmcnt 0x0
	s_barrier_signal -1
	s_barrier_wait -1
	global_inv scope:SCOPE_SE
	ds_load_2addr_b32 v[0:1], v9 offset0:4 offset1:69
	ds_load_2addr_b32 v[2:3], v9 offset0:134 offset1:199
	;; [unrolled: 1-line block ×4, first 2 shown]
	v_sub_nc_u16 v13, v14, v18
	v_and_b32_e32 v14, 0xffff, v10
	ds_load_2addr_b32 v[10:11], v44 offset1:65
	v_sub_nc_u16 v12, v8, v17
	global_wb scope:SCOPE_SE
	s_wait_dscnt 0x0
	v_and_b32_e32 v23, 0xff, v13
	v_lshl_add_u32 v62, v14, 2, v59
	s_barrier_signal -1
	v_and_b32_e32 v18, 0xff, v12
	s_barrier_wait -1
	v_lshlrev_b32_e32 v13, 4, v23
	global_inv scope:SCOPE_SE
	v_lshlrev_b32_e32 v12, 4, v18
	v_lshrrev_b32_e32 v22, 16, v0
	v_add_f16_e32 v14, v0, v2
	v_lshrrev_b32_e32 v17, 16, v4
	v_lshrrev_b32_e32 v21, 16, v6
	;; [unrolled: 1-line block ×3, first 2 shown]
	v_sub_f16_e32 v25, v6, v2
	v_sub_f16_e32 v26, v4, v0
	v_add_f16_e32 v27, v4, v6
	v_sub_f16_e32 v28, v2, v6
	v_sub_f16_e32 v29, v0, v4
	v_pk_add_f16 v30, v10, v4
	v_add_f16_e32 v33, v1, v3
	v_lshrrev_b32_e32 v34, 16, v5
	v_lshrrev_b32_e32 v35, 16, v7
	;; [unrolled: 1-line block ×4, first 2 shown]
	v_add_f16_e32 v65, v5, v7
	v_pk_add_f16 v68, v11, v5
	v_lshrrev_b32_e32 v31, 16, v10
	v_sub_f16_e32 v32, v0, v2
	v_sub_f16_e32 v63, v7, v3
	;; [unrolled: 1-line block ×5, first 2 shown]
	v_lshrrev_b32_e32 v69, 16, v11
	v_sub_f16_e32 v70, v1, v3
	v_fma_f16 v14, -0.5, v14, v10
	v_sub_f16_e32 v71, v17, v21
	v_sub_f16_e32 v72, v22, v24
	v_add_f16_e32 v25, v26, v25
	v_fma_f16 v10, -0.5, v27, v10
	v_add_f16_e32 v26, v29, v28
	v_pk_add_f16 v0, v30, v0
	v_add_f16_e32 v27, v22, v24
	v_sub_f16_e32 v28, v17, v22
	v_sub_f16_e32 v29, v21, v24
	v_add_f16_e32 v30, v17, v21
	v_sub_f16_e32 v17, v22, v17
	v_sub_f16_e32 v21, v24, v21
	v_fma_f16 v22, -0.5, v33, v11
	v_sub_f16_e32 v24, v34, v35
	v_sub_f16_e32 v33, v36, v61
	v_fma_f16 v11, -0.5, v65, v11
	v_pk_add_f16 v1, v68, v1
	v_add_f16_e32 v65, v36, v61
	v_add_f16_e32 v68, v34, v35
	v_sub_f16_e32 v5, v5, v7
	v_add_f16_e32 v63, v64, v63
	v_add_f16_e32 v64, v67, v66
	v_sub_f16_e32 v66, v34, v36
	v_sub_f16_e32 v67, v35, v61
	;; [unrolled: 1-line block ×4, first 2 shown]
	v_pk_add_f16 v0, v0, v2
	v_fma_f16 v2, -0.5, v27, v31
	v_add_f16_e32 v27, v28, v29
	v_fmac_f16_e32 v31, -0.5, v30
	v_add_f16_e32 v17, v17, v21
	v_fmamk_f16 v21, v24, 0x3b9c, v22
	v_fmamk_f16 v28, v33, 0xbb9c, v11
	v_fmac_f16_e32 v11, 0x3b9c, v33
	v_pk_add_f16 v1, v1, v3
	v_fma_f16 v29, -0.5, v65, v69
	v_fmac_f16_e32 v69, -0.5, v68
	v_sub_f16_e32 v4, v4, v6
	v_fmac_f16_e32 v22, 0xbb9c, v24
	v_add_f16_e32 v34, v34, v35
	v_fmamk_f16 v35, v32, 0x3b9c, v31
	v_fmac_f16_e32 v31, 0xbb9c, v32
	v_fmac_f16_e32 v21, 0x38b4, v33
	;; [unrolled: 1-line block ×4, first 2 shown]
	v_pk_add_f16 v1, v1, v7
	v_fmamk_f16 v7, v5, 0xbb9c, v29
	v_fmamk_f16 v24, v70, 0x3b9c, v69
	v_fmac_f16_e32 v69, 0xbb9c, v70
	v_fmac_f16_e32 v29, 0x3b9c, v5
	v_fmamk_f16 v36, v71, 0x3b9c, v14
	v_fmac_f16_e32 v14, 0xbb9c, v71
	v_add_f16_e32 v30, v66, v67
	v_pk_add_f16 v3, v0, v6
	v_fmac_f16_e32 v35, 0xb8b4, v4
	v_fmac_f16_e32 v31, 0x38b4, v4
	;; [unrolled: 1-line block ×9, first 2 shown]
	v_fmamk_f16 v61, v72, 0xbb9c, v10
	v_fmac_f16_e32 v10, 0x3b9c, v72
	v_fmac_f16_e32 v36, 0x38b4, v72
	;; [unrolled: 1-line block ×3, first 2 shown]
	v_fmamk_f16 v6, v4, 0xbb9c, v2
	v_fmac_f16_e32 v11, 0x34f2, v64
	v_pk_add_f16 v0, v3, v1
	v_pk_add_f16 v3, v3, v1 neg_lo:[0,1] neg_hi:[0,1]
	v_fmac_f16_e32 v35, 0x34f2, v17
	v_fmac_f16_e32 v31, 0x34f2, v17
	;; [unrolled: 1-line block ×5, first 2 shown]
	v_mul_f16_e32 v1, 0x3a79, v21
	v_mul_f16_e32 v17, 0xb8b4, v21
	v_fmac_f16_e32 v2, 0x3b9c, v4
	v_fmac_f16_e32 v22, 0x34f2, v63
	;; [unrolled: 1-line block ×3, first 2 shown]
	v_mul_f16_e32 v21, 0xbb9c, v28
	v_fmac_f16_e32 v61, 0x38b4, v71
	v_fmac_f16_e32 v10, 0xb8b4, v71
	;; [unrolled: 1-line block ×5, first 2 shown]
	v_mul_f16_e32 v4, 0x34f2, v11
	v_fmac_f16_e32 v1, 0x38b4, v7
	v_mul_f16_e32 v25, 0x3b9c, v24
	v_fmac_f16_e32 v17, 0x3a79, v7
	;; [unrolled: 2-line block ×5, first 2 shown]
	v_fmac_f16_e32 v10, 0x34f2, v26
	v_fmac_f16_e32 v6, 0x34f2, v27
	v_fma_f16 v4, v69, 0x3b9c, -v4
	v_fmac_f16_e32 v25, 0x34f2, v28
	v_fma_f16 v7, v11, 0xbb9c, -v7
	;; [unrolled: 2-line block ×3, first 2 shown]
	v_fma_f16 v11, v22, 0xb8b4, -v24
	v_add_f16_e32 v26, v36, v1
	v_add_f16_e32 v27, v10, v4
	;; [unrolled: 1-line block ×4, first 2 shown]
	v_sub_f16_e32 v10, v10, v4
	v_sub_f16_e32 v4, v6, v17
	v_add_f16_e32 v6, v61, v25
	v_add_f16_e32 v17, v31, v7
	;; [unrolled: 1-line block ×3, first 2 shown]
	v_sub_f16_e32 v22, v36, v1
	v_sub_f16_e32 v14, v14, v5
	;; [unrolled: 1-line block ×3, first 2 shown]
	v_add_f16_e32 v21, v2, v11
	v_sub_f16_e32 v24, v61, v25
	v_sub_f16_e32 v25, v31, v7
	v_sub_f16_e32 v11, v2, v11
	v_pack_b32_f16 v1, v26, v29
	v_pack_b32_f16 v7, v27, v17
	;; [unrolled: 1-line block ×8, first 2 shown]
	ds_store_2addr_b64 v62, v[0:1], v[6:7] offset1:1
	ds_store_2addr_b64 v62, v[2:3], v[4:5] offset0:2 offset1:3
	ds_store_b64 v62, v[10:11] offset:32
	global_wb scope:SCOPE_SE
	s_wait_dscnt 0x0
	s_barrier_signal -1
	s_barrier_wait -1
	global_inv scope:SCOPE_SE
	s_clause 0x1
	global_load_b128 v[4:7], v12, s[10:11]
	global_load_b128 v[0:3], v13, s[10:11]
	v_and_b32_e32 v10, 0xffff, v15
	v_and_b32_e32 v11, 0xffff, v16
	s_delay_alu instid0(VALU_DEP_2) | instskip(NEXT) | instid1(VALU_DEP_2)
	v_mul_u32_u24_e32 v24, 50, v10
	v_mul_u32_u24_e32 v25, 50, v11
	ds_load_2addr_b32 v[21:22], v44 offset1:65
	ds_load_2addr_b32 v[10:11], v44 offset0:130 offset1:195
	ds_load_2addr_b32 v[12:13], v9 offset0:4 offset1:69
	;; [unrolled: 1-line block ×4, first 2 shown]
	global_wb scope:SCOPE_SE
	s_wait_loadcnt_dscnt 0x0
	s_barrier_signal -1
	v_add_nc_u32_e32 v8, v24, v18
	v_add_nc_u32_e32 v18, v25, v23
	v_add_co_u32 v23, s0, s8, v60
	s_wait_alu 0xf1ff
	v_add_co_ci_u32_e64 v24, null, s9, 0, s0
	v_lshl_add_u32 v63, v8, 2, v59
	v_lshl_add_u32 v61, v18, 2, v59
	s_barrier_wait -1
	global_inv scope:SCOPE_SE
	v_lshrrev_b32_e32 v85, 16, v21
	v_lshrrev_b32_e32 v8, 16, v10
	;; [unrolled: 1-line block ×18, first 2 shown]
	v_mul_f16_e32 v30, v8, v74
	v_mul_f16_e32 v31, v10, v74
	;; [unrolled: 1-line block ×16, first 2 shown]
	v_fma_f16 v10, v10, v4, -v30
	v_fmac_f16_e32 v31, v8, v4
	v_fma_f16 v8, v12, v5, -v32
	v_fmac_f16_e32 v33, v18, v5
	;; [unrolled: 2-line block ×8, first 2 shown]
	v_add_f16_e32 v18, v8, v12
	v_sub_f16_e32 v28, v8, v10
	v_sub_f16_e32 v29, v12, v14
	v_add_f16_e32 v34, v33, v35
	v_add_f16_e32 v27, v10, v14
	;; [unrolled: 1-line block ×4, first 2 shown]
	v_sub_f16_e32 v25, v10, v8
	v_sub_f16_e32 v26, v14, v12
	v_add_f16_e32 v32, v85, v31
	v_add_f16_e32 v82, v13, v15
	;; [unrolled: 1-line block ×5, first 2 shown]
	v_sub_f16_e32 v19, v31, v64
	v_sub_f16_e32 v10, v10, v14
	;; [unrolled: 1-line block ×3, first 2 shown]
	v_add_f16_e32 v92, v91, v66
	v_sub_f16_e32 v95, v66, v76
	v_sub_f16_e32 v66, v76, v66
	;; [unrolled: 1-line block ×3, first 2 shown]
	v_add_f16_e32 v104, v28, v29
	v_fma_f16 v97, -0.5, v34, v85
	v_fma_f16 v29, -0.5, v18, v21
	v_sub_f16_e32 v30, v33, v35
	v_sub_f16_e32 v36, v8, v12
	v_fmac_f16_e32 v85, -0.5, v77
	v_fma_f16 v28, -0.5, v27, v21
	v_add_f16_e32 v81, v22, v11
	v_sub_f16_e32 v83, v11, v13
	v_sub_f16_e32 v89, v13, v11
	;; [unrolled: 1-line block ×3, first 2 shown]
	v_add_f16_e32 v8, v17, v8
	v_add_f16_e32 v17, v25, v26
	;; [unrolled: 1-line block ×3, first 2 shown]
	v_fma_f16 v32, -0.5, v82, v22
	v_fma_f16 v21, -0.5, v93, v91
	v_sub_f16_e32 v86, v76, v78
	v_sub_f16_e32 v94, v13, v15
	v_fmac_f16_e32 v22, -0.5, v88
	v_fmac_f16_e32 v91, -0.5, v98
	v_sub_f16_e32 v65, v31, v33
	v_sub_f16_e32 v75, v64, v35
	v_add_f16_e32 v66, v66, v99
	v_fmamk_f16 v26, v19, 0x3b9c, v29
	v_fmamk_f16 v99, v10, 0xbb9c, v97
	v_sub_f16_e32 v31, v33, v31
	v_sub_f16_e32 v79, v35, v64
	v_fmamk_f16 v27, v30, 0xbb9c, v28
	v_fmac_f16_e32 v28, 0x3b9c, v30
	v_fmamk_f16 v100, v36, 0x3b9c, v85
	v_fmac_f16_e32 v85, 0xbb9c, v36
	v_fmac_f16_e32 v29, 0xbb9c, v19
	;; [unrolled: 1-line block ×3, first 2 shown]
	v_sub_f16_e32 v87, v16, v15
	v_sub_f16_e32 v96, v80, v78
	v_add_f16_e32 v13, v81, v13
	v_add_f16_e32 v76, v92, v76
	v_fmamk_f16 v33, v84, 0x3b9c, v32
	v_fmamk_f16 v101, v11, 0xbb9c, v21
	v_sub_f16_e32 v90, v15, v16
	v_fmamk_f16 v34, v86, 0xbb9c, v22
	v_fmac_f16_e32 v22, 0x3b9c, v86
	v_fmamk_f16 v102, v94, 0x3b9c, v91
	v_fmac_f16_e32 v91, 0xbb9c, v94
	v_add_f16_e32 v65, v65, v75
	v_add_f16_e32 v8, v8, v12
	;; [unrolled: 1-line block ×3, first 2 shown]
	v_fmac_f16_e32 v32, 0xbb9c, v84
	v_fmac_f16_e32 v21, 0x3b9c, v11
	;; [unrolled: 1-line block ×4, first 2 shown]
	v_add_f16_e32 v31, v31, v79
	v_fmac_f16_e32 v27, 0x38b4, v19
	v_fmac_f16_e32 v28, 0xb8b4, v19
	;; [unrolled: 1-line block ×6, first 2 shown]
	v_add_f16_e32 v75, v83, v87
	v_add_f16_e32 v77, v95, v96
	;; [unrolled: 1-line block ×4, first 2 shown]
	v_fmac_f16_e32 v33, 0x38b4, v86
	v_fmac_f16_e32 v101, 0xb8b4, v94
	v_add_f16_e32 v18, v89, v90
	v_fmac_f16_e32 v34, 0x38b4, v84
	v_fmac_f16_e32 v22, 0xb8b4, v84
	;; [unrolled: 1-line block ×4, first 2 shown]
	v_add_f16_e32 v25, v8, v14
	v_add_f16_e32 v83, v12, v64
	v_fmac_f16_e32 v32, 0xb8b4, v86
	v_fmac_f16_e32 v21, 0x38b4, v94
	;; [unrolled: 1-line block ×10, first 2 shown]
	v_add_f16_e32 v30, v13, v16
	v_add_f16_e32 v103, v15, v80
	v_fmac_f16_e32 v33, 0x34f2, v75
	v_fmac_f16_e32 v101, 0x34f2, v77
	;; [unrolled: 1-line block ×8, first 2 shown]
	v_pack_b32_f16 v8, v25, v83
	v_pack_b32_f16 v11, v26, v99
	;; [unrolled: 1-line block ×10, first 2 shown]
	ds_store_2addr_b32 v63, v8, v11 offset1:10
	ds_store_2addr_b32 v63, v12, v13 offset0:20 offset1:30
	ds_store_b32 v63, v14 offset:160
	ds_store_2addr_b32 v61, v10, v15 offset1:10
	ds_store_2addr_b32 v61, v16, v17 offset0:20 offset1:30
	ds_store_b32 v61, v18 offset:160
	global_wb scope:SCOPE_SE
	s_wait_dscnt 0x0
	s_barrier_signal -1
	s_barrier_wait -1
	global_inv scope:SCOPE_SE
                                        ; implicit-def: $vgpr35
	s_and_saveexec_b32 s0, vcc_lo
	s_cbranch_execz .LBB0_3
; %bb.2:
	v_add_nc_u32_e32 v8, 0x600, v44
	ds_load_2addr_b32 v[25:26], v44 offset1:50
	ds_load_2addr_b32 v[27:28], v44 offset0:100 offset1:150
	ds_load_2addr_b32 v[29:30], v44 offset0:200 offset1:250
	ds_load_2addr_b32 v[33:34], v9 offset0:44 offset1:94
	ds_load_2addr_b32 v[31:32], v9 offset0:144 offset1:194
	ds_load_b32 v110, v44 offset:2400
	ds_load_2addr_b32 v[35:36], v8 offset0:116 offset1:166
	s_wait_dscnt 0x6
	v_lshrrev_b32_e32 v83, 16, v25
	v_lshrrev_b32_e32 v99, 16, v26
	s_wait_dscnt 0x5
	v_lshrrev_b32_e32 v100, 16, v27
	v_lshrrev_b32_e32 v85, 16, v28
	;; [unrolled: 3-line block ×5, first 2 shown]
	s_wait_dscnt 0x1
	v_lshrrev_b32_e32 v113, 16, v110
	s_wait_dscnt 0x0
	v_lshrrev_b32_e32 v111, 16, v35
	v_lshrrev_b32_e32 v112, 16, v36
	v_mov_b32_e32 v22, v31
.LBB0_3:
	s_wait_alu 0xfffe
	s_or_b32 exec_lo, exec_lo, s0
	v_subrev_nc_u32_e32 v8, 50, v49
	s_delay_alu instid0(VALU_DEP_1) | instskip(NEXT) | instid1(VALU_DEP_1)
	v_cndmask_b32_e32 v8, v8, v49, vcc_lo
	v_mul_i32_i24_e32 v9, 48, v8
	v_mul_hi_i32_i24_e32 v8, 48, v8
	s_delay_alu instid0(VALU_DEP_2) | instskip(SKIP_1) | instid1(VALU_DEP_2)
	v_add_co_u32 v16, s0, s10, v9
	s_wait_alu 0xf1ff
	v_add_co_ci_u32_e64 v17, s0, s11, v8, s0
	s_clause 0x2
	global_load_b128 v[12:15], v[16:17], off offset:160
	global_load_b128 v[8:11], v[16:17], off offset:176
	;; [unrolled: 1-line block ×3, first 2 shown]
	s_wait_loadcnt 0x2
	v_lshrrev_b32_e32 v80, 16, v12
	v_lshrrev_b32_e32 v75, 16, v15
	s_wait_loadcnt 0x0
	v_lshrrev_b32_e32 v82, 16, v19
	v_lshrrev_b32_e32 v79, 16, v13
	v_lshrrev_b32_e32 v77, 16, v14
	v_lshrrev_b32_e32 v64, 16, v9
	v_lshrrev_b32_e32 v81, 16, v18
	v_mul_f16_e32 v104, v99, v80
	v_mul_f16_e32 v98, v26, v80
	;; [unrolled: 1-line block ×5, first 2 shown]
	v_lshrrev_b32_e32 v65, 16, v8
	v_lshrrev_b32_e32 v76, 16, v16
	;; [unrolled: 1-line block ×3, first 2 shown]
	v_mul_f16_e32 v105, v100, v79
	v_mul_f16_e32 v96, v27, v79
	;; [unrolled: 1-line block ×7, first 2 shown]
	v_fma_f16 v109, v26, v12, -v104
	v_fmac_f16_e32 v98, v99, v12
	v_fmac_f16_e32 v94, v97, v15
	v_fma_f16 v97, v110, v19, -v122
	v_fmac_f16_e32 v84, v113, v19
	v_lshrrev_b32_e32 v31, 16, v10
	v_lshrrev_b32_e32 v66, 16, v11
	v_mul_f16_e32 v95, v28, v77
	v_mul_f16_e32 v115, v103, v65
	;; [unrolled: 1-line block ×6, first 2 shown]
	v_fma_f16 v108, v27, v13, -v105
	v_fmac_f16_e32 v96, v100, v13
	v_fma_f16 v107, v28, v14, -v106
	v_fma_f16 v106, v29, v15, -v114
	;; [unrolled: 1-line block ×4, first 2 shown]
	v_fmac_f16_e32 v88, v112, v18
	v_sub_f16_e32 v116, v109, v97
	v_sub_f16_e32 v114, v98, v84
	v_mul_f16_e32 v93, v30, v65
	v_mul_f16_e32 v117, v102, v31
	;; [unrolled: 1-line block ×5, first 2 shown]
	v_fmac_f16_e32 v95, v85, v14
	v_fma_f16 v105, v30, v8, -v115
	v_fmac_f16_e32 v92, v101, v9
	v_fma_f16 v101, v32, v16, -v119
	v_fma_f16 v99, v35, v17, -v120
	v_fmac_f16_e32 v87, v111, v17
	v_add_f16_e32 v30, v109, v97
	v_add_f16_e32 v32, v98, v84
	v_sub_f16_e32 v119, v108, v100
	v_sub_f16_e32 v115, v96, v88
	v_mul_f16_e32 v123, 0xb770, v114
	v_mul_f16_e64 v128, 0xb770, v116
	v_mul_f16_e64 v141, 0xba95, v114
	;; [unrolled: 1-line block ×5, first 2 shown]
	v_mul_f16_e32 v89, v22, v66
	v_fmac_f16_e32 v93, v103, v8
	v_fma_f16 v103, v34, v10, -v117
	v_fmac_f16_e32 v90, v102, v10
	v_fma_f16 v102, v22, v11, -v118
	v_fmac_f16_e32 v86, v21, v16
	v_add_f16_e32 v33, v108, v100
	v_add_f16_e32 v34, v96, v88
	v_sub_f16_e32 v117, v95, v87
	v_sub_f16_e64 v155, v107, v99
	v_mul_f16_e32 v121, 0xba95, v115
	v_mul_f16_e32 v126, 0xba95, v119
	v_mul_f16_e64 v140, 0xbb7b, v115
	v_mul_f16_e64 v149, 0xb3a8, v115
	;; [unrolled: 1-line block ×4, first 2 shown]
	v_fma_f16 v21, 0x388b, v30, v141
	v_fma_f16 v22, 0x2fb7, v30, v151
	;; [unrolled: 1-line block ×3, first 2 shown]
	v_fma_f16 v169, v32, 0x3b15, -v128
	v_fma_f16 v172, v32, 0x388b, -v148
	;; [unrolled: 1-line block ×3, first 2 shown]
	v_fmac_f16_e32 v89, v91, v11
	v_add_f16_e32 v35, v107, v99
	v_sub_f16_e32 v118, v94, v86
	v_add_f16_e32 v110, v95, v87
	v_sub_f16_e64 v154, v106, v101
	v_mul_f16_e64 v138, 0xb3a8, v117
	v_mul_f16_e64 v147, 0x3b7b, v117
	;; [unrolled: 1-line block ×6, first 2 shown]
	v_fma_f16 v26, 0xb5ac, v33, v140
	v_fma_f16 v27, 0xbbc4, v33, v149
	v_fma_f16 v170, 0x388b, v33, v121
	v_fma_f16 v171, v34, 0x388b, -v126
	v_fma_f16 v173, v34, 0xb5ac, -v150
	;; [unrolled: 1-line block ×3, first 2 shown]
	v_add_f16_e32 v21, v25, v21
	v_add_f16_e32 v22, v25, v22
	v_add_f16_e64 v166, v25, v166
	v_add_f16_e64 v169, v83, v169
	;; [unrolled: 1-line block ×4, first 2 shown]
	v_add_f16_e32 v36, v106, v101
	v_sub_f16_e32 v120, v93, v89
	v_add_f16_e32 v111, v94, v86
	v_sub_f16_e64 v156, v105, v102
	v_mul_f16_e64 v137, 0x394e, v118
	v_mul_f16_e64 v143, 0x3770, v118
	;; [unrolled: 1-line block ×6, first 2 shown]
	v_fma_f16 v28, 0xbbc4, v35, v138
	v_fma_f16 v29, 0xb5ac, v35, v147
	;; [unrolled: 1-line block ×3, first 2 shown]
	v_fma_f16 v177, v110, 0x2fb7, -v133
	v_fma_f16 v178, v110, 0xbbc4, -v146
	v_fma_f16 v179, v110, 0xb5ac, -v159
	v_add_f16_e32 v21, v26, v21
	v_add_f16_e32 v22, v27, v22
	v_add_f16_e64 v26, v170, v166
	v_add_f16_e64 v27, v171, v169
	;; [unrolled: 1-line block ×4, first 2 shown]
	v_add_f16_e32 v85, v105, v102
	v_sub_f16_e32 v124, v92, v90
	v_add_f16_e32 v112, v93, v89
	v_sub_f16_e64 v152, v104, v103
	v_mul_f16_e64 v135, 0x3bf1, v120
	v_mul_f16_e64 v142, 0xba95, v120
	v_mul_f16_e32 v125, 0xb94e, v120
	v_mul_f16_e64 v130, 0xb94e, v156
	v_mul_f16_e64 v144, 0x3bf1, v156
	;; [unrolled: 1-line block ×3, first 2 shown]
	v_fma_f16 v162, 0xb9fd, v36, v137
	v_fma_f16 v163, 0x3b15, v36, v143
	;; [unrolled: 1-line block ×3, first 2 shown]
	v_fma_f16 v181, v111, 0xb5ac, -v132
	v_fma_f16 v182, v111, 0xb9fd, -v145
	;; [unrolled: 1-line block ×3, first 2 shown]
	v_add_f16_e32 v21, v28, v21
	v_add_f16_e32 v22, v29, v22
	v_add_f16_e64 v26, v176, v26
	v_add_f16_e64 v27, v177, v27
	;; [unrolled: 1-line block ×4, first 2 shown]
	v_add_f16_e32 v91, v104, v103
	v_add_f16_e32 v113, v92, v90
	v_mul_f16_e64 v134, 0x3770, v124
	v_mul_f16_e64 v139, 0xb94e, v124
	v_mul_f16_e32 v122, 0xb3a8, v124
	v_mul_f16_e64 v127, 0xb3a8, v152
	v_mul_f16_e64 v136, 0x3770, v152
	;; [unrolled: 1-line block ×3, first 2 shown]
	v_fma_f16 v164, 0x2fb7, v85, v135
	v_fma_f16 v165, 0x388b, v85, v142
	;; [unrolled: 1-line block ×3, first 2 shown]
	v_fma_f16 v185, v112, 0xb9fd, -v130
	v_fma_f16 v186, v112, 0x2fb7, -v144
	;; [unrolled: 1-line block ×3, first 2 shown]
	v_add_f16_e64 v21, v162, v21
	v_add_f16_e64 v22, v163, v22
	;; [unrolled: 1-line block ×6, first 2 shown]
	v_fma_f16 v167, 0x3b15, v91, v134
	v_fma_f16 v168, 0xb9fd, v91, v139
	;; [unrolled: 1-line block ×3, first 2 shown]
	v_fma_f16 v189, v113, 0xbbc4, -v127
	v_fma_f16 v190, v113, 0x3b15, -v136
	;; [unrolled: 1-line block ×3, first 2 shown]
	v_add_f16_e64 v21, v164, v21
	v_add_f16_e64 v162, v165, v22
	;; [unrolled: 1-line block ×12, first 2 shown]
	s_and_saveexec_b32 s0, vcc_lo
	s_cbranch_execz .LBB0_5
; %bb.4:
	v_mul_f16_e64 v188, 0xb3a8, v116
	v_mul_f16_e64 v202, 0xb3a8, v114
	;; [unrolled: 1-line block ×5, first 2 shown]
	v_fma_f16 v193, 0xbbc4, v32, v188
	v_fma_f16 v205, v30, 0xbbc4, -v202
	v_fma_f16 v198, 0x3b15, v34, v194
	v_fma_f16 v208, v33, 0x3b15, -v206
	v_mul_f16_e64 v209, 0xb94e, v117
	v_add_f16_e64 v193, v83, v193
	v_add_f16_e64 v205, v25, v205
	v_add_f16_e32 v98, v83, v98
	v_mul_f16_e64 v203, 0x3a95, v154
	v_mul_f16_e64 v211, 0x3a95, v118
	v_add_f16_e64 v193, v198, v193
	v_fma_f16 v198, 0xb9fd, v110, v199
	v_add_f16_e64 v205, v208, v205
	v_fma_f16 v208, v35, 0xb9fd, -v209
	v_add_f16_e32 v109, v25, v109
	v_add_f16_e32 v96, v98, v96
	v_add_f16_e64 v193, v198, v193
	v_fma_f16 v198, 0x388b, v111, v203
	v_mul_f16_e64 v207, 0xbb7b, v156
	v_add_f16_e64 v205, v208, v205
	v_fma_f16 v208, v36, 0x388b, -v211
	v_mul_f16_e64 v213, 0xbb7b, v120
	v_add_f16_e32 v108, v109, v108
	v_add_f16_e32 v95, v96, v95
	v_add_f16_e64 v193, v198, v193
	v_fma_f16 v198, 0xb5ac, v112, v207
	v_mul_f16_e64 v210, 0x3bf1, v152
	v_add_f16_e64 v205, v208, v205
	v_fma_f16 v208, v85, 0xb5ac, -v213
	v_mul_f16_e64 v215, 0x3bf1, v124
	v_mul_f16_e64 v163, 0x3b15, v32
	v_add_f16_e32 v107, v108, v107
	v_add_f16_e32 v94, v95, v94
	v_add_f16_e64 v193, v198, v193
	v_fma_f16 v198, 0x2fb7, v113, v210
	v_mul_f16_e64 v212, 0xb94e, v116
	v_add_f16_e64 v205, v208, v205
	v_fma_f16 v208, v91, 0x2fb7, -v215
	v_mul_f16_e64 v218, 0xb94e, v114
	v_mul_f16_e64 v162, 0x3b15, v30
	;; [unrolled: 1-line block ×3, first 2 shown]
	v_add_f16_e64 v108, v128, v163
	v_add_f16_e32 v106, v107, v106
	v_add_f16_e32 v93, v94, v93
	v_add_f16_e64 v193, v198, v193
	v_fma_f16 v198, 0xb9fd, v32, v212
	v_mul_f16_e64 v214, 0x3bf1, v119
	v_add_f16_e64 v205, v208, v205
	v_fma_f16 v208, v30, 0xb9fd, -v218
	v_mul_f16_e64 v220, 0x3bf1, v115
	v_mul_f16_e64 v168, 0x388b, v33
	v_mul_f16_e64 v175, 0x2fb7, v110
	v_sub_f16_e64 v123, v162, v123
	v_add_f16_e32 v107, v83, v108
	v_add_f16_e64 v95, v126, v169
	v_add_f16_e32 v105, v106, v105
	v_add_f16_e32 v92, v93, v92
	v_add_f16_e64 v198, v83, v198
	v_fma_f16 v216, 0x2fb7, v34, v214
	v_mul_f16_e64 v217, 0xba95, v155
	v_add_f16_e64 v208, v25, v208
	v_fma_f16 v222, v33, 0x2fb7, -v220
	v_mul_f16_e64 v223, 0xba95, v117
	v_mul_f16_e64 v174, 0x2fb7, v35
	v_add_f16_e32 v108, v25, v123
	v_sub_f16_e64 v106, v168, v121
	v_add_f16_e32 v94, v95, v107
	v_add_f16_e64 v95, v133, v175
	v_add_f16_e32 v104, v105, v104
	v_add_f16_e32 v90, v92, v90
	v_add_f16_e64 v198, v216, v198
	v_fma_f16 v216, 0x388b, v110, v217
	v_mul_f16_e64 v219, 0x33a8, v154
	v_add_f16_e64 v208, v222, v208
	v_fma_f16 v222, v35, 0x388b, -v223
	v_mul_f16_e64 v225, 0x33a8, v118
	v_mul_f16_e64 v180, 0xb5ac, v36
	v_add_f16_e32 v105, v106, v108
	v_sub_f16_e64 v93, v174, v131
	v_add_f16_e32 v94, v95, v94
	v_add_f16_e32 v95, v104, v103
	;; [unrolled: 1-line block ×3, first 2 shown]
	v_add_f16_e64 v198, v216, v198
	v_fma_f16 v216, 0xbbc4, v111, v219
	v_mul_f16_e64 v221, 0x3770, v156
	v_add_f16_e64 v208, v222, v208
	v_fma_f16 v222, v36, 0xbbc4, -v225
	v_mul_f16_e64 v226, 0x3770, v120
	v_mul_f16_e64 v181, 0xb5ac, v111
	v_add_f16_e32 v92, v93, v105
	v_sub_f16_e64 v93, v180, v129
	v_add_f16_e32 v95, v95, v102
	v_add_f16_e32 v86, v89, v86
	v_add_f16_e64 v198, v216, v198
	v_fma_f16 v216, 0x3b15, v112, v221
	v_mul_f16_e64 v224, 0xbb7b, v152
	v_add_f16_e64 v208, v222, v208
	v_fma_f16 v222, v85, 0x3b15, -v226
	v_mul_f16_e64 v227, 0xbb7b, v124
	v_mul_f16_e64 v164, 0x388b, v30
	;; [unrolled: 1-line block ×5, first 2 shown]
	v_add_f16_e64 v103, v132, v181
	v_add_f16_e32 v92, v93, v92
	v_add_f16_e32 v93, v95, v101
	;; [unrolled: 1-line block ×3, first 2 shown]
	v_mul_f16_e64 v166, 0x2fb7, v30
	v_mul_f16_e64 v167, 0x2fb7, v32
	v_add_f16_e64 v198, v216, v198
	v_fma_f16 v216, 0xb5ac, v113, v224
	v_mul_f16_e32 v116, 0xbb7b, v116
	v_add_f16_e64 v208, v222, v208
	v_fma_f16 v222, v91, 0xb5ac, -v227
	v_mul_f16_e32 v114, 0xbb7b, v114
	v_mul_f16_e64 v170, 0xb5ac, v33
	v_mul_f16_e64 v171, 0xb5ac, v34
	v_add_f16_e64 v148, v148, v165
	v_sub_f16_e64 v141, v164, v141
	v_mul_f16_e64 v195, 0xbbc4, v91
	v_mul_f16_e64 v196, 0xbbc4, v113
	v_add_f16_e32 v94, v103, v94
	v_add_f16_e64 v90, v130, v187
	v_sub_f16_e64 v95, v186, v125
	v_add_f16_e32 v93, v93, v99
	v_add_f16_e32 v86, v86, v88
	v_mul_f16_e64 v172, 0xbbc4, v33
	v_mul_f16_e64 v173, 0xbbc4, v34
	v_add_f16_e64 v198, v216, v198
	v_fma_f16 v216, 0xb5ac, v32, v116
	v_mul_f16_e32 v119, 0x394e, v119
	v_add_f16_e64 v208, v222, v208
	v_fma_f16 v222, v30, 0xb5ac, -v114
	v_mul_f16_e32 v115, 0x394e, v115
	v_add_f16_e64 v161, v161, v167
	v_sub_f16_e64 v151, v166, v151
	v_mul_f16_e64 v176, 0xbbc4, v35
	v_mul_f16_e64 v177, 0xbbc4, v110
	v_add_f16_e64 v148, v83, v148
	v_add_f16_e64 v150, v150, v171
	;; [unrolled: 1-line block ×3, first 2 shown]
	v_sub_f16_e64 v140, v170, v140
	v_add_f16_e32 v89, v90, v94
	v_add_f16_e64 v90, v127, v196
	v_add_f16_e32 v92, v95, v92
	v_sub_f16_e64 v87, v195, v122
	v_add_f16_e32 v93, v93, v100
	v_fma_f16 v88, v32, 0xbbc4, -v188
	v_fmac_f16_e64 v202, 0xbbc4, v30
	v_add_f16_e32 v84, v86, v84
	v_fma_f16 v86, v32, 0xb9fd, -v212
	v_fmac_f16_e64 v218, 0xb9fd, v30
	v_fma_f16 v32, v32, 0xb5ac, -v116
	v_fmac_f16_e32 v114, 0xb5ac, v30
	v_mul_f16_e64 v178, 0xb5ac, v35
	v_mul_f16_e64 v179, 0xb5ac, v110
	v_add_f16_e64 v216, v83, v216
	v_fma_f16 v228, 0xb9fd, v34, v119
	v_mul_f16_e64 v155, 0x3770, v155
	v_add_f16_e64 v222, v25, v222
	v_fma_f16 v229, v33, 0xb9fd, -v115
	v_mul_f16_e32 v117, 0x3770, v117
	v_add_f16_e64 v161, v83, v161
	v_add_f16_e64 v160, v160, v173
	;; [unrolled: 1-line block ×3, first 2 shown]
	v_sub_f16_e64 v149, v172, v149
	v_mul_f16_e64 v182, 0xb9fd, v36
	v_mul_f16_e64 v183, 0xb9fd, v111
	v_add_f16_e64 v148, v150, v148
	v_add_f16_e64 v146, v146, v177
	;; [unrolled: 1-line block ×3, first 2 shown]
	v_sub_f16_e64 v138, v176, v138
	v_add_f16_e32 v89, v90, v89
	v_add_f16_e32 v87, v87, v92
	;; [unrolled: 1-line block ×4, first 2 shown]
	v_fma_f16 v92, v34, 0x3b15, -v194
	v_add_f16_e64 v93, v25, v202
	v_fmac_f16_e64 v206, 0x3b15, v33
	v_add_f16_e32 v86, v83, v86
	v_fma_f16 v95, v34, 0x2fb7, -v214
	v_add_f16_e64 v30, v25, v218
	v_fmac_f16_e64 v220, 0x2fb7, v33
	v_add_f16_e32 v32, v83, v32
	v_fma_f16 v34, v34, 0xb9fd, -v119
	v_add_f16_e32 v25, v25, v114
	v_fmac_f16_e32 v115, 0xb9fd, v33
	v_mul_f16_e64 v184, 0x3b15, v36
	v_mul_f16_e64 v185, 0x3b15, v111
	v_add_f16_e64 v216, v228, v216
	v_fma_f16 v228, 0x3b15, v110, v155
	v_mul_f16_e64 v154, 0xbbf1, v154
	v_add_f16_e64 v167, v229, v222
	v_fma_f16 v222, v35, 0x3b15, -v117
	v_mul_f16_e32 v118, 0xbbf1, v118
	v_add_f16_e64 v160, v160, v161
	v_add_f16_e64 v159, v159, v179
	;; [unrolled: 1-line block ×3, first 2 shown]
	v_sub_f16_e64 v147, v178, v147
	v_mul_f16_e64 v189, 0x2fb7, v85
	v_mul_f16_e64 v190, 0x2fb7, v112
	v_add_f16_e64 v146, v146, v148
	v_add_f16_e64 v145, v145, v183
	;; [unrolled: 1-line block ×3, first 2 shown]
	v_sub_f16_e64 v137, v182, v137
	v_add_f16_e32 v88, v92, v88
	v_fma_f16 v92, v110, 0xb9fd, -v199
	v_add_f16_e64 v93, v206, v93
	v_fmac_f16_e64 v209, 0xb9fd, v35
	v_add_f16_e32 v86, v95, v86
	v_fma_f16 v95, v110, 0x388b, -v217
	v_add_f16_e64 v30, v220, v30
	v_fmac_f16_e64 v223, 0x388b, v35
	v_add_f16_e32 v32, v34, v32
	v_fma_f16 v33, v110, 0x3b15, -v155
	v_add_f16_e32 v25, v115, v25
	v_fmac_f16_e32 v117, 0x3b15, v35
	v_mul_f16_e64 v191, 0x388b, v85
	v_mul_f16_e64 v192, 0x388b, v112
	v_add_f16_e64 v216, v228, v216
	v_fma_f16 v228, 0x2fb7, v111, v154
	v_mul_f16_e64 v156, 0x33a8, v156
	v_add_f16_e64 v167, v222, v167
	v_fma_f16 v173, v36, 0x2fb7, -v118
	v_mul_f16_e32 v120, 0x33a8, v120
	v_add_f16_e64 v159, v159, v160
	v_add_f16_e64 v158, v158, v185
	;; [unrolled: 1-line block ×3, first 2 shown]
	v_sub_f16_e64 v143, v184, v143
	v_mul_f16_e64 v197, 0x3b15, v91
	v_mul_f16_e64 v200, 0x3b15, v113
	v_add_f16_e64 v141, v145, v146
	v_add_f16_e64 v144, v144, v190
	;; [unrolled: 1-line block ×3, first 2 shown]
	v_sub_f16_e64 v135, v189, v135
	v_add_f16_e32 v88, v92, v88
	v_fma_f16 v92, v111, 0x388b, -v203
	v_add_f16_e64 v93, v209, v93
	v_fmac_f16_e64 v211, 0x388b, v36
	v_add_f16_e32 v86, v95, v86
	v_fma_f16 v95, v111, 0xbbc4, -v219
	v_add_f16_e64 v30, v223, v30
	v_fmac_f16_e64 v225, 0xbbc4, v36
	v_add_f16_e32 v32, v33, v32
	v_fma_f16 v33, v111, 0x2fb7, -v154
	v_add_f16_e32 v25, v117, v25
	v_fmac_f16_e32 v118, 0x2fb7, v36
	v_mul_f16_e64 v201, 0xb9fd, v91
	v_mul_f16_e64 v204, 0xb9fd, v113
	v_add_f16_e64 v216, v228, v216
	v_fma_f16 v228, 0xbbc4, v112, v156
	v_mul_f16_e64 v152, 0x3a95, v152
	v_add_f16_e64 v161, v173, v167
	v_fma_f16 v167, v85, 0xbbc4, -v120
	v_mul_f16_e32 v124, 0x3a95, v124
	v_add_f16_e64 v158, v158, v159
	v_add_f16_e64 v157, v157, v192
	;; [unrolled: 1-line block ×3, first 2 shown]
	v_sub_f16_e64 v142, v191, v142
	v_add_f16_e64 v140, v144, v141
	v_add_f16_e64 v136, v136, v200
	;; [unrolled: 1-line block ×3, first 2 shown]
	v_sub_f16_e64 v96, v197, v134
	v_add_f16_e32 v88, v92, v88
	v_fma_f16 v92, v112, 0xb5ac, -v207
	v_add_f16_e64 v93, v211, v93
	v_fmac_f16_e64 v213, 0xb5ac, v85
	v_add_f16_e32 v86, v95, v86
	v_fma_f16 v95, v112, 0x3b15, -v221
	v_add_f16_e64 v30, v225, v30
	v_fmac_f16_e64 v226, 0x3b15, v85
	v_add_f16_e32 v32, v33, v32
	v_fma_f16 v33, v112, 0xbbc4, -v156
	v_add_f16_e32 v25, v118, v25
	v_fmac_f16_e32 v120, 0xbbc4, v85
	v_add_f16_e64 v216, v228, v216
	v_fma_f16 v173, 0x388b, v113, v152
	v_add_f16_e64 v160, v167, v161
	v_fma_f16 v161, v91, 0x388b, -v124
	v_add_f16_e64 v157, v157, v158
	v_add_f16_e64 v153, v153, v204
	;; [unrolled: 1-line block ×3, first 2 shown]
	v_sub_f16_e64 v139, v201, v139
	v_add_f16_e64 v98, v136, v140
	v_add_f16_e64 v94, v96, v135
	v_add_f16_e32 v88, v92, v88
	v_fma_f16 v92, v113, 0x2fb7, -v210
	v_add_f16_e64 v93, v213, v93
	v_fmac_f16_e64 v215, 0x2fb7, v91
	v_add_f16_e32 v86, v95, v86
	v_fma_f16 v95, v113, 0xb5ac, -v224
	v_add_f16_e64 v30, v226, v30
	v_fmac_f16_e64 v227, 0xb5ac, v91
	v_add_f16_e32 v32, v33, v32
	v_fma_f16 v33, v113, 0x388b, -v152
	v_add_f16_e32 v25, v120, v25
	v_fmac_f16_e32 v124, 0x388b, v91
	v_add_f16_e64 v167, v173, v216
	v_add_f16_e64 v159, v161, v160
	;; [unrolled: 1-line block ×4, first 2 shown]
	v_pack_b32_f16 v34, v90, v84
	v_lshl_add_u32 v35, v49, 2, v59
	v_pack_b32_f16 v36, v87, v89
	v_pack_b32_f16 v83, v94, v98
	v_add_f16_e32 v88, v92, v88
	v_add_f16_e64 v92, v215, v93
	v_add_f16_e32 v86, v95, v86
	v_add_f16_e64 v30, v227, v30
	v_add_f16_e32 v32, v33, v32
	v_add_f16_e32 v25, v124, v25
	ds_store_b32 v44, v34
	ds_store_2addr_b32 v35, v36, v83 offset0:50 offset1:100
	v_pack_b32_f16 v33, v109, v151
	v_pack_b32_f16 v34, v159, v167
	;; [unrolled: 1-line block ×4, first 2 shown]
	v_add_nc_u32_e32 v84, 0x200, v35
	v_pack_b32_f16 v85, v92, v88
	v_pack_b32_f16 v30, v30, v86
	v_add_nc_u32_e32 v86, 0x400, v35
	v_pack_b32_f16 v25, v25, v32
	v_perm_b32 v32, v26, v21, 0x5040100
	v_perm_b32 v87, v28, v22, 0x5040100
	;; [unrolled: 1-line block ×3, first 2 shown]
	v_add_nc_u32_e32 v89, 0x800, v35
	ds_store_2addr_b32 v35, v33, v34 offset0:150 offset1:200
	ds_store_2addr_b32 v84, v36, v83 offset0:122 offset1:172
	;; [unrolled: 1-line block ×5, first 2 shown]
.LBB0_5:
	s_wait_alu 0xfffe
	s_or_b32 exec_lo, exec_lo, s0
	s_add_nc_u64 s[0:1], s[8:9], 0xa28
	global_wb scope:SCOPE_SE
	s_wait_dscnt 0x0
	s_barrier_signal -1
	s_barrier_wait -1
	global_inv scope:SCOPE_SE
	s_clause 0x9
	global_load_b32 v25, v[23:24], off offset:2600
	global_load_b32 v36, v60, s[0:1] offset:260
	global_load_b32 v87, v60, s[0:1] offset:520
	;; [unrolled: 1-line block ×9, first 2 shown]
	v_add_nc_u32_e32 v30, 0x400, v44
	ds_load_2addr_b32 v[23:24], v44 offset1:65
	ds_load_2addr_b32 v[32:33], v44 offset0:130 offset1:195
	v_add_nc_u32_e32 v94, 0x800, v44
	ds_load_2addr_b32 v[34:35], v30 offset0:4 offset1:69
	ds_load_2addr_b32 v[83:84], v30 offset0:134 offset1:199
	;; [unrolled: 1-line block ×3, first 2 shown]
	s_wait_dscnt 0x4
	v_lshrrev_b32_e32 v95, 16, v23
	v_lshrrev_b32_e32 v96, 16, v24
	s_wait_dscnt 0x3
	v_lshrrev_b32_e32 v97, 16, v32
	v_lshrrev_b32_e32 v98, 16, v33
	;; [unrolled: 3-line block ×5, first 2 shown]
	s_wait_loadcnt 0x9
	v_lshrrev_b32_e32 v105, 16, v25
	s_wait_loadcnt 0x8
	v_lshrrev_b32_e32 v106, 16, v36
	s_wait_loadcnt 0x7
	v_lshrrev_b32_e32 v107, 16, v87
	s_wait_loadcnt 0x6
	v_lshrrev_b32_e32 v108, 16, v88
	s_wait_loadcnt 0x5
	v_lshrrev_b32_e32 v109, 16, v89
	s_wait_loadcnt 0x4
	v_lshrrev_b32_e32 v110, 16, v90
	s_wait_loadcnt 0x3
	v_lshrrev_b32_e32 v111, 16, v91
	s_wait_loadcnt 0x2
	v_lshrrev_b32_e32 v112, 16, v92
	s_wait_loadcnt 0x1
	v_lshrrev_b32_e32 v113, 16, v93
	s_wait_loadcnt 0x0
	v_lshrrev_b32_e32 v114, 16, v60
	v_mul_f16_e32 v115, v95, v105
	v_mul_f16_e32 v105, v23, v105
	v_mul_f16_e32 v116, v96, v106
	v_mul_f16_e32 v106, v24, v106
	v_mul_f16_e32 v117, v97, v107
	v_mul_f16_e32 v107, v32, v107
	v_mul_f16_e32 v118, v98, v108
	v_mul_f16_e32 v108, v33, v108
	v_mul_f16_e32 v119, v99, v109
	v_mul_f16_e32 v109, v34, v109
	v_mul_f16_e32 v120, v100, v110
	v_mul_f16_e32 v110, v35, v110
	v_mul_f16_e32 v121, v101, v111
	v_mul_f16_e32 v111, v83, v111
	v_mul_f16_e32 v122, v102, v112
	v_mul_f16_e32 v112, v84, v112
	v_mul_f16_e32 v123, v103, v113
	v_mul_f16_e32 v113, v85, v113
	v_mul_f16_e32 v124, v104, v114
	v_mul_f16_e32 v114, v86, v114
	v_fma_f16 v23, v23, v25, -v115
	v_fmac_f16_e32 v105, v95, v25
	v_fma_f16 v24, v24, v36, -v116
	v_fmac_f16_e32 v106, v96, v36
	;; [unrolled: 2-line block ×10, first 2 shown]
	v_pack_b32_f16 v23, v23, v105
	v_pack_b32_f16 v24, v24, v106
	;; [unrolled: 1-line block ×10, first 2 shown]
	ds_store_2addr_b32 v44, v23, v24 offset1:65
	ds_store_2addr_b32 v44, v25, v32 offset0:130 offset1:195
	ds_store_2addr_b32 v30, v33, v34 offset0:4 offset1:69
	ds_store_2addr_b32 v30, v35, v36 offset0:134 offset1:199
	ds_store_2addr_b32 v94, v60, v83 offset0:8 offset1:73
	global_wb scope:SCOPE_SE
	s_wait_dscnt 0x0
	s_barrier_signal -1
	s_barrier_wait -1
	global_inv scope:SCOPE_SE
	ds_load_2addr_b32 v[23:24], v30 offset0:4 offset1:69
	ds_load_2addr_b32 v[32:33], v30 offset0:134 offset1:199
	;; [unrolled: 1-line block ×4, first 2 shown]
	ds_load_2addr_b32 v[85:86], v44 offset1:65
	global_wb scope:SCOPE_SE
	s_wait_dscnt 0x0
	s_barrier_signal -1
	s_barrier_wait -1
	global_inv scope:SCOPE_SE
	v_lshrrev_b32_e32 v87, 16, v23
	v_add_f16_e32 v25, v23, v32
	v_lshrrev_b32_e32 v36, 16, v34
	v_lshrrev_b32_e32 v60, 16, v83
	;; [unrolled: 1-line block ×3, first 2 shown]
	v_sub_f16_e32 v89, v83, v32
	v_sub_f16_e32 v90, v34, v23
	v_add_f16_e32 v91, v34, v83
	v_sub_f16_e32 v92, v32, v83
	v_sub_f16_e32 v93, v23, v34
	v_pk_add_f16 v95, v85, v34
	v_add_f16_e32 v98, v24, v33
	v_lshrrev_b32_e32 v99, 16, v35
	v_lshrrev_b32_e32 v100, 16, v84
	;; [unrolled: 1-line block ×4, first 2 shown]
	v_add_f16_e32 v105, v35, v84
	v_pk_add_f16 v108, v86, v35
	v_lshrrev_b32_e32 v96, 16, v85
	v_sub_f16_e32 v97, v23, v32
	v_sub_f16_e32 v104, v35, v24
	;; [unrolled: 1-line block ×3, first 2 shown]
	v_lshrrev_b32_e32 v109, 16, v86
	v_sub_f16_e32 v110, v24, v33
	v_fma_f16 v25, -0.5, v25, v85
	v_sub_f16_e32 v111, v36, v60
	v_sub_f16_e32 v112, v87, v88
	v_add_f16_e32 v89, v90, v89
	v_fma_f16 v85, -0.5, v91, v85
	v_add_f16_e32 v90, v93, v92
	v_pk_add_f16 v23, v95, v23
	v_add_f16_e32 v91, v87, v88
	v_sub_f16_e32 v92, v36, v87
	v_sub_f16_e32 v93, v60, v88
	v_add_f16_e32 v95, v36, v60
	v_sub_f16_e32 v36, v87, v36
	v_sub_f16_e32 v60, v88, v60
	v_fma_f16 v87, -0.5, v98, v86
	v_sub_f16_e32 v88, v99, v100
	v_sub_f16_e32 v98, v101, v102
	v_fma_f16 v86, -0.5, v105, v86
	v_pk_add_f16 v24, v108, v24
	v_add_f16_e32 v105, v101, v102
	v_add_f16_e32 v108, v99, v100
	v_sub_f16_e32 v103, v84, v33
	v_sub_f16_e32 v106, v33, v84
	;; [unrolled: 1-line block ×3, first 2 shown]
	v_pk_add_f16 v23, v23, v32
	v_fma_f16 v32, -0.5, v91, v96
	v_add_f16_e32 v91, v92, v93
	v_add_f16_e32 v36, v36, v60
	v_fmamk_f16 v60, v88, 0xbb9c, v87
	v_fmamk_f16 v92, v98, 0x3b9c, v86
	v_fmac_f16_e32 v86, 0xbb9c, v98
	v_pk_add_f16 v24, v24, v33
	v_fma_f16 v93, -0.5, v105, v109
	v_fmac_f16_e32 v109, -0.5, v108
	v_add_f16_e32 v103, v104, v103
	v_add_f16_e32 v104, v107, v106
	v_sub_f16_e32 v106, v99, v101
	v_sub_f16_e32 v107, v100, v102
	;; [unrolled: 1-line block ×4, first 2 shown]
	v_fmac_f16_e32 v96, -0.5, v95
	v_fmac_f16_e32 v87, 0x3b9c, v88
	v_fmac_f16_e32 v60, 0xb8b4, v98
	;; [unrolled: 1-line block ×4, first 2 shown]
	v_pk_add_f16 v24, v24, v84
	v_fmamk_f16 v84, v35, 0x3b9c, v93
	v_fmamk_f16 v88, v110, 0xbb9c, v109
	v_fmac_f16_e32 v109, 0x3b9c, v110
	v_fmac_f16_e32 v93, 0xbb9c, v35
	v_sub_f16_e32 v34, v34, v83
	v_add_f16_e32 v95, v106, v107
	v_add_f16_e32 v99, v99, v100
	v_pk_add_f16 v33, v23, v83
	v_fmamk_f16 v100, v97, 0xbb9c, v96
	v_fmac_f16_e32 v96, 0x3b9c, v97
	v_fmac_f16_e32 v60, 0x34f2, v103
	;; [unrolled: 1-line block ×5, first 2 shown]
	v_fmamk_f16 v101, v111, 0xbb9c, v25
	v_fmac_f16_e32 v25, 0x3b9c, v111
	v_fmamk_f16 v102, v112, 0x3b9c, v85
	v_fmac_f16_e32 v85, 0xbb9c, v112
	v_fmac_f16_e32 v93, 0xb8b4, v110
	v_fmamk_f16 v83, v34, 0x3b9c, v32
	v_fmac_f16_e32 v100, 0x38b4, v34
	v_fmac_f16_e32 v96, 0xb8b4, v34
	v_pk_add_f16 v23, v33, v24
	v_pk_add_f16 v33, v33, v24 neg_lo:[0,1] neg_hi:[0,1]
	v_fmac_f16_e32 v84, 0x34f2, v95
	v_fmac_f16_e32 v88, 0x34f2, v99
	;; [unrolled: 1-line block ×3, first 2 shown]
	v_mul_f16_e32 v24, 0x38b4, v60
	v_fmac_f16_e32 v101, 0xb8b4, v112
	v_fmac_f16_e32 v25, 0x38b4, v112
	;; [unrolled: 1-line block ×12, first 2 shown]
	v_mul_f16_e32 v34, 0xb8b4, v84
	v_mul_f16_e32 v35, 0xbb9c, v88
	;; [unrolled: 1-line block ×3, first 2 shown]
	v_fmac_f16_e32 v24, 0x3a79, v84
	v_mul_f16_e32 v84, 0x34f2, v88
	v_mul_f16_e32 v88, 0xb4f2, v109
	v_fmac_f16_e32 v101, 0x34f2, v89
	v_fmac_f16_e32 v25, 0x34f2, v89
	;; [unrolled: 1-line block ×6, first 2 shown]
	v_mul_f16_e32 v89, 0xb8b4, v93
	v_mul_f16_e32 v90, 0xba79, v93
	v_fmac_f16_e32 v83, 0x34f2, v91
	v_fmac_f16_e32 v34, 0x3a79, v60
	;; [unrolled: 1-line block ×9, first 2 shown]
	v_add_f16_e32 v60, v83, v24
	v_sub_f16_e32 v83, v83, v24
	v_add_f16_e32 v24, v101, v34
	v_add_f16_e32 v86, v102, v35
	;; [unrolled: 1-line block ×7, first 2 shown]
	v_sub_f16_e32 v97, v101, v34
	v_sub_f16_e32 v98, v102, v35
	;; [unrolled: 1-line block ×7, first 2 shown]
	v_pack_b32_f16 v35, v87, v93
	v_pack_b32_f16 v34, v86, v92
	;; [unrolled: 1-line block ×8, first 2 shown]
	ds_store_2addr_b64 v62, v[23:24], v[34:35] offset1:1
	ds_store_2addr_b64 v62, v[32:33], v[83:84] offset0:2 offset1:3
	ds_store_b64 v62, v[85:86] offset:32
	global_wb scope:SCOPE_SE
	s_wait_dscnt 0x0
	s_barrier_signal -1
	s_barrier_wait -1
	global_inv scope:SCOPE_SE
	ds_load_2addr_b32 v[23:24], v44 offset1:65
	ds_load_2addr_b32 v[34:35], v44 offset0:130 offset1:195
	ds_load_2addr_b32 v[83:84], v30 offset0:4 offset1:69
	;; [unrolled: 1-line block ×4, first 2 shown]
	global_wb scope:SCOPE_SE
	s_wait_dscnt 0x0
	s_barrier_signal -1
	s_barrier_wait -1
	global_inv scope:SCOPE_SE
	v_lshrrev_b32_e32 v33, 16, v23
	v_lshrrev_b32_e32 v25, 16, v34
	;; [unrolled: 1-line block ×9, first 2 shown]
	v_mul_f16_e32 v93, v74, v34
	v_mul_f16_e32 v94, v73, v83
	;; [unrolled: 1-line block ×12, first 2 shown]
	v_fma_f16 v25, v4, v25, -v93
	v_fma_f16 v36, v5, v36, -v94
	;; [unrolled: 1-line block ×4, first 2 shown]
	v_mul_f16_e32 v70, v70, v89
	v_fma_f16 v60, v0, v89, -v97
	v_mul_f16_e32 v69, v69, v90
	v_fma_f16 v89, v1, v90, -v98
	v_mul_f16_e32 v90, v68, v91
	v_mul_f16_e32 v94, v67, v92
	v_fmac_f16_e32 v73, v5, v83
	v_fmac_f16_e32 v72, v6, v85
	;; [unrolled: 1-line block ×4, first 2 shown]
	v_lshrrev_b32_e32 v32, 16, v24
	v_fma_f16 v91, v2, v91, -v99
	v_fma_f16 v92, v3, v92, -v100
	v_fmac_f16_e32 v69, v1, v84
	v_fmac_f16_e32 v90, v2, v86
	;; [unrolled: 1-line block ×3, first 2 shown]
	v_sub_f16_e32 v2, v25, v36
	v_sub_f16_e32 v3, v62, v93
	v_fmac_f16_e32 v70, v0, v35
	v_add_f16_e32 v0, v33, v25
	v_add_f16_e32 v1, v36, v93
	;; [unrolled: 1-line block ×4, first 2 shown]
	v_sub_f16_e32 v6, v36, v25
	v_sub_f16_e32 v7, v93, v62
	v_add_f16_e32 v98, v74, v71
	v_sub_f16_e32 v5, v25, v62
	v_add_f16_e32 v25, v32, v60
	v_add_f16_e32 v34, v89, v91
	;; [unrolled: 1-line block ×6, first 2 shown]
	v_sub_f16_e32 v83, v36, v93
	v_add_f16_e32 v88, v23, v74
	v_sub_f16_e32 v96, v74, v73
	v_sub_f16_e32 v99, v73, v74
	v_add_f16_e32 v0, v0, v36
	v_fma_f16 v36, -0.5, v1, v33
	v_sub_f16_e32 v74, v74, v71
	v_fmac_f16_e32 v33, -0.5, v4
	v_add_f16_e32 v1, v24, v70
	v_fma_f16 v4, -0.5, v95, v23
	v_sub_f16_e32 v35, v60, v89
	v_sub_f16_e32 v67, v92, v91
	;; [unrolled: 1-line block ×3, first 2 shown]
	v_add_f16_e32 v103, v6, v7
	v_sub_f16_e32 v3, v70, v69
	v_sub_f16_e32 v6, v94, v90
	v_fma_f16 v7, -0.5, v98, v23
	v_sub_f16_e32 v84, v60, v92
	v_sub_f16_e32 v85, v89, v91
	;; [unrolled: 1-line block ×4, first 2 shown]
	v_add_f16_e32 v89, v25, v89
	v_fma_f16 v60, -0.5, v34, v32
	v_sub_f16_e32 v70, v70, v94
	v_fma_f16 v25, -0.5, v2, v24
	v_sub_f16_e32 v107, v69, v90
	v_fmac_f16_e32 v32, -0.5, v68
	v_fmac_f16_e32 v24, -0.5, v104
	v_sub_f16_e32 v87, v91, v92
	v_sub_f16_e32 v97, v71, v72
	v_add_f16_e32 v73, v88, v73
	v_fmamk_f16 v68, v74, 0x3b9c, v36
	v_add_f16_e32 v69, v1, v69
	v_fmamk_f16 v1, v5, 0xbb9c, v4
	v_sub_f16_e32 v100, v72, v71
	v_add_f16_e32 v108, v35, v67
	v_add_f16_e32 v0, v0, v93
	v_fmamk_f16 v67, v101, 0xbb9c, v33
	v_fmac_f16_e32 v33, 0x3b9c, v101
	v_add_f16_e32 v93, v3, v6
	v_fmamk_f16 v6, v83, 0x3b9c, v7
	v_fmac_f16_e32 v7, 0xbb9c, v83
	v_fmac_f16_e32 v36, 0xbb9c, v74
	;; [unrolled: 1-line block ×3, first 2 shown]
	v_fmamk_f16 v35, v70, 0x3b9c, v60
	v_fmamk_f16 v2, v84, 0xbb9c, v25
	v_sub_f16_e32 v106, v90, v94
	v_fmamk_f16 v34, v107, 0xbb9c, v32
	v_fmac_f16_e32 v32, 0x3b9c, v107
	v_fmamk_f16 v3, v85, 0x3b9c, v24
	v_fmac_f16_e32 v24, 0xbb9c, v85
	v_add_f16_e32 v86, v86, v87
	v_add_f16_e32 v87, v96, v97
	v_fmac_f16_e32 v60, 0xbb9c, v70
	v_add_f16_e32 v72, v73, v72
	v_fmac_f16_e32 v68, 0x38b4, v101
	v_fmac_f16_e32 v25, 0x3b9c, v84
	;; [unrolled: 1-line block ×3, first 2 shown]
	v_add_f16_e32 v88, v99, v100
	v_fmac_f16_e32 v67, 0x38b4, v74
	v_fmac_f16_e32 v33, 0xb8b4, v74
	;; [unrolled: 1-line block ×6, first 2 shown]
	v_add_f16_e32 v89, v89, v91
	v_add_f16_e32 v69, v69, v90
	v_fmac_f16_e32 v35, 0x38b4, v107
	v_fmac_f16_e32 v2, 0xb8b4, v85
	v_add_f16_e32 v95, v105, v106
	v_fmac_f16_e32 v34, 0x38b4, v70
	v_fmac_f16_e32 v32, 0xb8b4, v70
	;; [unrolled: 1-line block ×4, first 2 shown]
	v_add_f16_e32 v23, v0, v62
	v_fmac_f16_e32 v60, 0xb8b4, v107
	v_add_f16_e32 v0, v72, v71
	v_fmac_f16_e32 v68, 0x34f2, v102
	v_fmac_f16_e32 v25, 0x38b4, v85
	;; [unrolled: 1-line block ×9, first 2 shown]
	v_add_f16_e32 v62, v89, v92
	v_add_f16_e32 v5, v69, v94
	v_fmac_f16_e32 v35, 0x34f2, v108
	v_fmac_f16_e32 v2, 0x34f2, v93
	;; [unrolled: 1-line block ×8, first 2 shown]
	v_pack_b32_f16 v69, v0, v23
	v_pack_b32_f16 v71, v1, v68
	;; [unrolled: 1-line block ×10, first 2 shown]
	ds_store_2addr_b32 v63, v69, v71 offset1:10
	ds_store_2addr_b32 v63, v72, v73 offset0:20 offset1:30
	ds_store_b32 v63, v74 offset:160
	ds_store_2addr_b32 v61, v70, v83 offset1:10
	ds_store_2addr_b32 v61, v84, v85 offset0:20 offset1:30
	ds_store_b32 v61, v86 offset:160
	global_wb scope:SCOPE_SE
	s_wait_dscnt 0x0
	s_barrier_signal -1
	s_barrier_wait -1
	global_inv scope:SCOPE_SE
	s_and_saveexec_b32 s0, vcc_lo
	s_cbranch_execz .LBB0_7
; %bb.6:
	v_add_nc_u32_e32 v21, 0x600, v44
	ds_load_2addr_b32 v[0:1], v44 offset1:50
	ds_load_2addr_b32 v[6:7], v44 offset0:100 offset1:150
	ds_load_2addr_b32 v[4:5], v44 offset0:200 offset1:250
	;; [unrolled: 1-line block ×4, first 2 shown]
	ds_load_b32 v27, v44 offset:2400
	ds_load_2addr_b32 v[21:22], v21 offset0:116 offset1:166
	s_wait_dscnt 0x6
	v_lshrrev_b32_e32 v23, 16, v0
	v_lshrrev_b32_e32 v68, 16, v1
	s_wait_dscnt 0x5
	v_lshrrev_b32_e32 v67, 16, v6
	v_lshrrev_b32_e32 v33, 16, v7
	;; [unrolled: 3-line block ×5, first 2 shown]
	s_wait_dscnt 0x1
	v_lshrrev_b32_e32 v29, 16, v27
	s_wait_dscnt 0x0
	v_lshrrev_b32_e32 v26, 16, v21
	v_lshrrev_b32_e32 v28, 16, v22
.LBB0_7:
	s_wait_alu 0xfffe
	s_or_b32 exec_lo, exec_lo, s0
	s_and_saveexec_b32 s0, vcc_lo
	s_cbranch_execz .LBB0_9
; %bb.8:
	v_mul_f16_e32 v30, v82, v27
	v_mul_f16_e32 v61, v80, v1
	;; [unrolled: 1-line block ×5, first 2 shown]
	v_fma_f16 v30, v19, v29, -v30
	v_fma_f16 v61, v12, v68, -v61
	v_mul_f16_e32 v68, v80, v68
	v_mul_f16_e32 v29, v82, v29
	v_fma_f16 v63, v18, v28, -v63
	v_fma_f16 v69, v13, v67, -v69
	v_add_f16_e32 v70, v30, v61
	v_mul_f16_e32 v67, v79, v67
	v_mul_f16_e32 v28, v81, v28
	v_fmac_f16_e32 v68, v12, v1
	v_fmac_f16_e32 v29, v19, v27
	v_add_f16_e32 v27, v63, v69
	v_fmac_f16_e32 v67, v13, v6
	v_fmac_f16_e32 v28, v18, v22
	v_mul_f16_e32 v19, 0xbbc4, v70
	v_sub_f16_e32 v6, v68, v29
	v_mul_f16_e32 v18, 0x3b15, v27
	v_mul_f16_e32 v22, v78, v21
	v_sub_f16_e32 v1, v67, v28
	v_mul_f16_e32 v72, v77, v33
	v_fmamk_f16 v12, v6, 0x33a8, v19
	v_fma_f16 v33, v14, v33, -v71
	v_fma_f16 v22, v17, v26, -v22
	v_fmamk_f16 v13, v1, 0xb770, v18
	v_mul_f16_e32 v26, v78, v26
	v_add_f16_e32 v12, v23, v12
	v_mul_f16_e32 v71, v75, v4
	v_add_f16_e32 v73, v22, v33
	v_fmac_f16_e32 v72, v14, v7
	v_fmac_f16_e32 v26, v17, v21
	v_add_f16_e32 v12, v13, v12
	v_mul_f16_e32 v13, v76, v25
	v_fma_f16 v21, v15, v36, -v71
	v_mul_f16_e32 v36, v75, v36
	v_mul_f16_e32 v14, v65, v5
	;; [unrolled: 1-line block ×3, first 2 shown]
	v_fma_f16 v17, v16, v60, -v13
	v_mul_f16_e32 v60, v76, v60
	v_sub_f16_e32 v7, v72, v26
	v_fmac_f16_e32 v36, v15, v4
	v_mul_f16_e32 v13, v66, v24
	v_add_f16_e32 v74, v17, v21
	v_fmac_f16_e32 v60, v16, v25
	v_fma_f16 v76, v8, v62, -v14
	v_mul_f16_e32 v62, v65, v62
	v_fmamk_f16 v15, v7, 0x394e, v71
	v_mul_f16_e32 v25, 0x388b, v74
	v_sub_f16_e32 v4, v36, v60
	v_fma_f16 v75, v11, v32, -v13
	v_mul_f16_e32 v32, v66, v32
	v_fmac_f16_e32 v62, v8, v5
	v_mul_f16_e32 v8, v31, v3
	v_sub_f16_e32 v66, v61, v30
	v_add_f16_e32 v12, v15, v12
	v_fmamk_f16 v13, v4, 0xba95, v25
	v_fmac_f16_e32 v32, v11, v24
	v_mul_f16_e32 v11, v64, v2
	v_fma_f16 v77, v10, v34, -v8
	v_add_f16_e32 v8, v29, v68
	v_mul_f16_e32 v79, 0xb3a8, v66
	v_sub_f16_e32 v80, v69, v63
	v_fma_f16 v78, v9, v35, -v11
	v_add_f16_e32 v13, v13, v12
	v_add_f16_e32 v11, v28, v67
	v_fmamk_f16 v12, v8, 0xbbc4, v79
	v_mul_f16_e32 v82, 0x3770, v80
	v_mul_f16_e32 v35, v64, v35
	v_sub_f16_e32 v64, v33, v22
	v_add_f16_e32 v65, v75, v76
	v_mul_f16_e32 v31, v31, v34
	v_add_f16_e32 v15, v0, v12
	v_fmamk_f16 v16, v11, 0x3b15, v82
	v_add_f16_e32 v12, v26, v72
	v_mul_f16_e32 v34, 0xb94e, v64
	v_sub_f16_e32 v83, v21, v17
	v_mul_f16_e32 v24, 0xb5ac, v65
	v_sub_f16_e32 v5, v62, v32
	v_add_f16_e32 v81, v77, v78
	v_fmac_f16_e32 v35, v9, v2
	v_fmac_f16_e32 v31, v10, v3
	v_add_f16_e32 v3, v16, v15
	v_fmamk_f16 v10, v12, 0xb9fd, v34
	v_add_f16_e32 v9, v60, v36
	v_mul_f16_e32 v84, 0x3a95, v83
	v_sub_f16_e32 v86, v76, v75
	v_fmamk_f16 v14, v5, 0x3b7b, v24
	v_mul_f16_e32 v85, 0x2fb7, v81
	v_sub_f16_e32 v2, v35, v31
	v_add_f16_e32 v3, v10, v3
	v_fmamk_f16 v15, v9, 0x388b, v84
	v_add_f16_e32 v10, v32, v62
	v_mul_f16_e32 v87, 0xbb7b, v86
	v_mul_f16_e32 v88, 0xb9fd, v70
	v_add_f16_e32 v13, v14, v13
	v_fmamk_f16 v14, v2, 0xbbf1, v85
	v_add_f16_e32 v15, v15, v3
	v_fmamk_f16 v16, v10, 0xb5ac, v87
	v_fmamk_f16 v89, v6, 0x394e, v88
	v_mul_f16_e32 v90, 0x2fb7, v27
	v_add_f16_e32 v3, v14, v13
	v_sub_f16_e32 v91, v78, v77
	v_add_f16_e32 v14, v16, v15
	v_add_f16_e32 v15, v23, v89
	v_fmamk_f16 v16, v1, 0xbbf1, v90
	v_mul_f16_e32 v89, 0x388b, v73
	v_mul_f16_e32 v93, 0xb94e, v66
	v_add_f16_e32 v13, v31, v35
	v_mul_f16_e32 v92, 0x3bf1, v91
	v_add_f16_e32 v15, v16, v15
	v_fmamk_f16 v16, v7, 0x3a95, v89
	v_mul_f16_e32 v94, 0xbbc4, v74
	v_fmamk_f16 v96, v8, 0xb9fd, v93
	v_mul_f16_e32 v97, 0x3bf1, v80
	v_fmamk_f16 v95, v13, 0x2fb7, v92
	v_add_f16_e32 v15, v16, v15
	v_fmamk_f16 v16, v4, 0xb3a8, v94
	v_mul_f16_e32 v98, 0x3b15, v65
	v_add_f16_e32 v96, v0, v96
	v_fmamk_f16 v99, v11, 0x2fb7, v97
	v_mul_f16_e32 v100, 0xba95, v64
	v_add_f16_e32 v15, v16, v15
	v_fmamk_f16 v16, v5, 0xb770, v98
	v_add_f16_e32 v14, v95, v14
	v_add_f16_e32 v95, v99, v96
	v_fmamk_f16 v96, v12, 0x388b, v100
	v_mul_f16_e32 v99, 0x33a8, v83
	v_add_f16_e32 v15, v16, v15
	v_mul_f16_e32 v107, 0xbb7b, v66
	v_mul_f16_e32 v111, 0x394e, v80
	v_add_f16_e32 v16, v96, v95
	v_fmamk_f16 v95, v9, 0xbbc4, v99
	v_mul_f16_e32 v96, 0x3770, v86
	v_fmamk_f16 v110, v8, 0xb5ac, v107
	v_mul_f16_e32 v101, 0xb5ac, v81
	v_mul_f16_e32 v102, 0xb5ac, v70
	v_add_f16_e32 v16, v95, v16
	v_fmamk_f16 v95, v10, 0x3b15, v96
	v_add_f16_e32 v110, v0, v110
	v_fmamk_f16 v113, v11, 0xb9fd, v111
	v_mul_f16_e32 v114, 0x3770, v64
	v_fmamk_f16 v103, v2, 0x3b7b, v101
	v_add_f16_e32 v16, v95, v16
	v_mul_f16_e32 v95, 0xbb7b, v91
	v_fmamk_f16 v104, v6, 0x3b7b, v102
	v_mul_f16_e32 v105, 0xb9fd, v27
	v_add_f16_e32 v15, v103, v15
	v_mul_f16_e32 v106, 0x3b15, v73
	v_fmamk_f16 v109, v13, 0xb5ac, v95
	v_add_f16_e32 v103, v23, v104
	v_fmamk_f16 v104, v1, 0xb94e, v105
	v_mul_f16_e32 v116, 0x33a8, v86
	v_mul_f16_e32 v108, 0x2fb7, v74
	v_add_f16_e32 v16, v109, v16
	v_add_f16_e32 v109, v113, v110
	v_fmamk_f16 v110, v12, 0x3b15, v114
	v_mul_f16_e32 v113, 0xbbf1, v83
	v_add_f16_e32 v103, v104, v103
	v_fmamk_f16 v104, v7, 0xb770, v106
	v_mul_f16_e32 v121, 0xbbf1, v66
	;; [unrolled: 3-line block ×3, first 2 shown]
	v_add_f16_e32 v103, v104, v103
	v_fmamk_f16 v104, v4, 0x3bf1, v108
	v_fmamk_f16 v124, v8, 0x2fb7, v121
	v_add_f16_e32 v109, v110, v109
	v_fmamk_f16 v110, v10, 0xbbc4, v116
	v_mul_f16_e32 v125, 0xb3a8, v80
	v_add_f16_e32 v103, v104, v103
	v_fmamk_f16 v104, v5, 0xb3a8, v112
	v_add_f16_e32 v124, v0, v124
	v_add_f16_e32 v109, v110, v109
	v_mul_f16_e32 v110, 0x3a95, v91
	v_fmamk_f16 v127, v11, 0xbbc4, v125
	v_mul_f16_e64 v128, 0x3b7b, v64
	v_add_f16_e32 v103, v104, v103
	v_mul_f16_e32 v104, 0x388b, v81
	v_fmamk_f16 v123, v13, 0x388b, v110
	v_mul_f16_e32 v115, 0x2fb7, v70
	v_mul_f16_e32 v119, 0xbbc4, v27
	v_mul_f16_e64 v130, 0xba95, v86
	v_fmamk_f16 v117, v2, 0xba95, v104
	v_add_f16_e32 v109, v123, v109
	v_add_f16_e32 v123, v127, v124
	v_fma_f16 v124, 0xb5ac, v12, v128
	v_mul_f16_e32 v127, 0x3770, v83
	v_fmamk_f16 v118, v6, 0x3bf1, v115
	v_add_f16_e32 v103, v117, v103
	v_mul_f16_e32 v120, 0xb5ac, v73
	v_add_f16_e32 v123, v124, v123
	v_fmamk_f16 v124, v9, 0x3b15, v127
	v_add_f16_e32 v117, v23, v118
	v_fmamk_f16 v118, v1, 0x33a8, v119
	v_mul_f16_e32 v122, 0x3b15, v74
	v_mul_f16_e32 v126, 0x388b, v65
	v_add_f16_e32 v123, v124, v123
	v_fma_f16 v124, 0x388b, v10, v130
	v_add_f16_e32 v117, v118, v117
	v_fmamk_f16 v118, v7, 0xbb7b, v120
	v_mul_f16_e64 v138, 0xbb7b, v80
	v_mul_f16_e64 v141, 0xb3a8, v64
	v_add_f16_e32 v123, v124, v123
	v_mul_f16_e32 v124, 0xba95, v66
	v_add_f16_e32 v117, v118, v117
	v_fmamk_f16 v118, v4, 0xb770, v122
	v_fma_f16 v140, 0xb5ac, v11, v138
	v_add_f16_e32 v68, v0, v68
	v_fma_f16 v137, 0x388b, v8, v124
	v_mul_f16_e64 v143, 0x394e, v83
	v_add_f16_e32 v117, v118, v117
	v_fmamk_f16 v118, v5, 0x3a95, v126
	v_add_f16_e32 v61, v61, v23
	v_add_f16_e64 v137, v0, v137
	v_add_f16_e32 v67, v67, v68
	v_mul_f16_e64 v132, 0xb5ac, v27
	v_add_f16_e32 v117, v118, v117
	v_mul_f16_e32 v118, 0x388b, v70
	v_add_f16_e64 v137, v140, v137
	v_fma_f16 v140, 0xbbc4, v12, v141
	v_mul_f16_e32 v70, 0x3b15, v70
	v_mul_f16_e64 v136, 0xb94e, v91
	v_fma_f16 v131, 0x3a95, v6, v118
	v_mul_f16_e64 v144, 0x3bf1, v86
	v_add_f16_e64 v137, v140, v137
	v_fma_f16 v140, 0xb9fd, v9, v143
	v_fma_f16 v145, 0x3770, v6, v70
	v_mul_f16_e32 v27, 0x388b, v27
	v_add_f16_e32 v61, v69, v61
	v_add_f16_e32 v67, v72, v67
	v_add_f16_e64 v131, v23, v131
	v_fma_f16 v134, 0x3b7b, v1, v132
	v_mul_f16_e64 v135, 0xbbc4, v73
	v_fma_f16 v142, 0xb9fd, v13, v136
	v_add_f16_e64 v137, v140, v137
	v_fma_f16 v140, 0x2fb7, v10, v144
	v_add_f16_e64 v145, v23, v145
	v_fma_f16 v147, 0x3a95, v1, v27
	v_mul_f16_e32 v73, 0x2fb7, v73
	v_add_f16_e32 v33, v33, v61
	v_add_f16_e32 v36, v36, v67
	v_add_f16_e64 v131, v134, v131
	v_mul_f16_e64 v134, 0xb9fd, v74
	v_add_f16_e64 v123, v142, v123
	v_add_f16_e64 v137, v140, v137
	;; [unrolled: 1-line block ×3, first 2 shown]
	v_fma_f16 v142, 0x3bf1, v7, v73
	v_mul_f16_e32 v74, 0xb5ac, v74
	v_add_f16_e32 v21, v21, v33
	v_add_f16_e32 v36, v62, v36
	v_mul_f16_e32 v66, 0xb770, v66
	v_add_f16_e64 v68, v142, v140
	v_fmamk_f16 v69, v4, 0x3b7b, v74
	v_add_f16_e32 v21, v76, v21
	v_add_f16_e32 v35, v35, v36
	v_mul_f16_e32 v67, 0xba95, v80
	v_mul_f16_e64 v139, 0x2fb7, v65
	v_add_f16_e32 v61, v69, v68
	v_fmamk_f16 v68, v8, 0x3b15, v66
	v_add_f16_e32 v21, v78, v21
	v_add_f16_e32 v31, v31, v35
	v_mul_f16_e32 v33, 0xb9fd, v65
	v_fmamk_f16 v62, v11, 0x388b, v67
	v_add_f16_e32 v65, v0, v68
	v_mul_f16_e32 v64, 0xbbf1, v64
	v_add_f16_e32 v21, v77, v21
	v_add_f16_e32 v31, v32, v31
	v_fmamk_f16 v68, v5, 0x394e, v33
	v_add_f16_e32 v36, v62, v65
	v_fmamk_f16 v62, v12, 0x2fb7, v64
	v_mul_f16_e32 v65, 0xbb7b, v83
	v_add_f16_e32 v21, v75, v21
	v_add_f16_e32 v31, v60, v31
	;; [unrolled: 1-line block ×4, first 2 shown]
	v_fmamk_f16 v61, v9, 0xb5ac, v65
	v_mul_f16_e32 v32, 0xb94e, v86
	v_add_f16_e32 v17, v17, v21
	v_add_f16_e32 v26, v26, v31
	v_mul_f16_e32 v21, 0xb3a8, v91
	v_add_f16_e32 v36, v61, v36
	v_fmamk_f16 v60, v10, 0xb9fd, v32
	v_add_f16_e32 v17, v22, v17
	v_add_f16_e32 v26, v28, v26
	v_fmamk_f16 v22, v13, 0xbbc4, v21
	v_fmac_f16_e32 v19, 0xb3a8, v6
	v_add_f16_e32 v31, v60, v36
	v_add_f16_e32 v17, v63, v17
	;; [unrolled: 1-line block ×3, first 2 shown]
	v_fma_f16 v29, v8, 0xbbc4, -v79
	v_fmac_f16_e32 v88, 0xb94e, v6
	v_add_f16_e32 v22, v22, v31
	v_add_f16_e32 v17, v30, v17
	;; [unrolled: 1-line block ×3, first 2 shown]
	v_fmac_f16_e32 v18, 0x3770, v1
	v_add_f16_e32 v29, v0, v29
	v_fma_f16 v30, v11, 0x3b15, -v82
	v_add_f16_e32 v31, v23, v88
	v_fmac_f16_e32 v90, 0x3bf1, v1
	v_add_f16_e32 v18, v18, v19
	v_fmac_f16_e32 v71, 0xb94e, v7
	v_add_f16_e32 v19, v30, v29
	v_fma_f16 v29, v12, 0xb9fd, -v34
	v_add_f16_e32 v30, v90, v31
	v_fmac_f16_e32 v89, 0xba95, v7
	v_add_f16_e32 v18, v71, v18
	;; [unrolled: 6-line block ×3, first 2 shown]
	v_fma_f16 v25, v10, 0xb5ac, -v87
	v_add_f16_e32 v19, v29, v19
	v_fmac_f16_e32 v98, 0x3770, v5
	v_add_f16_e32 v29, v94, v30
	v_fmac_f16_e32 v102, 0xbb7b, v6
	v_fma_f16 v30, v11, 0x2fb7, -v97
	v_add_f16_e32 v19, v25, v19
	v_fmac_f16_e32 v105, 0x394e, v1
	v_add_f16_e32 v25, v98, v29
	v_fma_f16 v29, v8, 0xb9fd, -v93
	v_add_f16_e32 v31, v23, v102
	v_fmac_f16_e32 v106, 0x3770, v7
	v_fmac_f16_e32 v108, 0xbbf1, v4
	;; [unrolled: 1-line block ×3, first 2 shown]
	v_add_f16_e32 v29, v0, v29
	v_add_f16_e32 v31, v105, v31
	v_fmac_f16_e32 v112, 0x33a8, v5
	v_fmac_f16_e32 v101, 0xbb7b, v2
	v_add_f16_e32 v18, v24, v18
	v_add_f16_e32 v29, v30, v29
	v_fma_f16 v30, v12, 0x388b, -v100
	v_add_f16_e32 v31, v106, v31
	v_fma_f16 v24, v13, 0x2fb7, -v92
	v_mul_f16_e64 v129, 0xb9fd, v81
	v_mul_f16_e32 v62, 0xbbc4, v81
	v_add_f16_e32 v29, v30, v29
	v_fma_f16 v30, v9, 0xbbc4, -v99
	v_add_f16_e32 v31, v108, v31
	v_fmac_f16_e32 v104, 0x3a95, v2
	v_add_f16_e32 v19, v24, v19
	v_add_f16_e32 v24, v101, v25
	;; [unrolled: 1-line block ×3, first 2 shown]
	v_fma_f16 v30, v10, 0x3b15, -v96
	v_add_f16_e32 v31, v112, v31
	v_fma_f16 v25, v8, 0xb5ac, -v107
	v_fma_f16 v133, 0x394e, v2, v129
	v_fmamk_f16 v61, v2, 0x33a8, v62
	v_add_f16_e32 v29, v30, v29
	v_fma_f16 v30, v13, 0xb5ac, -v95
	v_fmac_f16_e32 v118, 0xba95, v6
	v_add_f16_e32 v25, v0, v25
	v_fma_f16 v34, v11, 0xb9fd, -v111
	v_add_f16_e64 v117, v133, v117
	v_add_f16_e32 v29, v30, v29
	v_add_f16_e32 v30, v104, v31
	v_fma_f16 v31, v8, 0x2fb7, -v121
	v_fma_f16 v133, 0x33a8, v7, v135
	v_add_f16_e32 v28, v61, v35
	v_fma_f16 v35, v11, 0xbbc4, -v125
	v_add_f16_e32 v60, v23, v118
	v_add_f16_e32 v31, v0, v31
	v_fmac_f16_e64 v132, 0xbb7b, v1
	v_add_f16_e32 v25, v34, v25
	v_fma_f16 v34, v12, 0x3b15, -v114
	v_add_f16_e64 v131, v133, v131
	v_fma_f16 v133, 0xb94e, v4, v134
	v_add_f16_e32 v31, v35, v31
	v_fma_f16 v35, v12, 0xb5ac, -v128
	v_add_f16_e64 v60, v132, v60
	v_fmac_f16_e64 v135, 0xb3a8, v7
	v_add_f16_e32 v25, v34, v25
	v_fma_f16 v34, v9, 0x2fb7, -v113
	v_add_f16_e64 v131, v133, v131
	v_fma_f16 v133, 0xbbf1, v5, v139
	v_add_f16_e32 v31, v35, v31
	v_fma_f16 v35, v9, 0x3b15, -v127
	v_add_f16_e64 v60, v135, v60
	v_fmac_f16_e64 v134, 0x394e, v4
	v_add_f16_e32 v25, v34, v25
	v_fma_f16 v34, v10, 0xbbc4, -v116
	v_add_f16_e64 v131, v133, v131
	v_mul_f16_e64 v133, 0x3b15, v81
	v_add_f16_e32 v31, v35, v31
	v_fma_f16 v35, v10, 0x388b, -v130
	v_add_f16_e64 v60, v134, v60
	v_fmac_f16_e64 v139, 0x3bf1, v5
	v_add_f16_e32 v25, v34, v25
	v_fma_f16 v34, v13, 0x388b, -v110
	v_fmac_f16_e32 v115, 0xbbf1, v6
	v_fma_f16 v146, 0xb770, v2, v133
	v_add_f16_e32 v31, v35, v31
	v_fma_f16 v35, v13, 0xb9fd, -v136
	v_add_f16_e64 v60, v139, v60
	v_fmac_f16_e64 v133, 0x3770, v2
	v_fma_f16 v61, v8, 0x388b, -v124
	v_fmac_f16_e32 v70, 0xb770, v6
	v_fma_f16 v8, v8, 0x3b15, -v66
	v_add_f16_e32 v25, v34, v25
	v_add_f16_e32 v34, v23, v115
	v_fmac_f16_e32 v119, 0xb3a8, v1
	v_add_f16_e32 v31, v35, v31
	v_add_f16_e64 v6, v133, v60
	v_add_f16_e32 v35, v0, v61
	v_fma_f16 v60, v11, 0xb5ac, -v138
	v_add_f16_e32 v23, v23, v70
	v_fmac_f16_e32 v27, 0xba95, v1
	v_add_f16_e32 v0, v0, v8
	v_fma_f16 v1, v11, 0x388b, -v67
	v_add_f16_e32 v34, v119, v34
	v_fmac_f16_e32 v120, 0x3b7b, v7
	;; [unrolled: 4-line block ×3, first 2 shown]
	v_add_f16_e32 v0, v1, v0
	v_fma_f16 v1, v12, 0x2fb7, -v64
	v_mul_f16_e64 v145, 0x3770, v91
	v_add_f16_e32 v34, v120, v34
	v_fmac_f16_e32 v122, 0x3770, v4
	v_add_f16_e32 v7, v11, v8
	v_fma_f16 v8, v9, 0xb9fd, -v143
	v_add_f16_e32 v11, v73, v23
	v_fmac_f16_e32 v74, 0xbb7b, v4
	v_add_f16_e32 v0, v1, v0
	v_fma_f16 v1, v9, 0xb5ac, -v65
	v_fma_f16 v72, 0x3b15, v13, v145
	v_add_f16_e32 v34, v122, v34
	v_fmac_f16_e32 v126, 0xba95, v5
	v_add_f16_e32 v4, v8, v7
	v_fma_f16 v7, v10, 0x2fb7, -v144
	v_add_f16_e32 v8, v74, v11
	v_fmac_f16_e32 v33, 0xb94e, v5
	v_add_f16_e32 v0, v1, v0
	v_fma_f16 v1, v10, 0xb9fd, -v32
	v_add_f16_e64 v131, v146, v131
	v_add_f16_e64 v36, v72, v137
	v_fmac_f16_e32 v85, 0x3bf1, v2
	v_add_f16_e32 v34, v126, v34
	v_fmac_f16_e64 v129, 0xb94e, v2
	v_add_f16_e32 v4, v7, v4
	v_fma_f16 v5, v13, 0x3b15, -v145
	v_add_f16_e32 v7, v33, v8
	v_fmac_f16_e32 v62, 0xb3a8, v2
	v_add_f16_e32 v0, v1, v0
	v_fma_f16 v1, v13, 0xbbc4, -v21
	v_pack_b32_f16 v2, v26, v17
	v_lshl_add_u32 v8, v49, 2, v59
	v_pack_b32_f16 v9, v22, v28
	v_pack_b32_f16 v10, v36, v131
	v_add_f16_e32 v18, v85, v18
	v_add_f16_e64 v34, v129, v34
	v_add_f16_e32 v4, v5, v4
	v_add_f16_e32 v5, v62, v7
	;; [unrolled: 1-line block ×3, first 2 shown]
	ds_store_b32 v44, v2
	ds_store_2addr_b32 v8, v9, v10 offset0:50 offset1:100
	v_pack_b32_f16 v1, v123, v117
	v_pack_b32_f16 v2, v109, v103
	;; [unrolled: 1-line block ×4, first 2 shown]
	v_add_nc_u32_e32 v9, 0x200, v8
	v_pack_b32_f16 v10, v19, v18
	v_pack_b32_f16 v11, v29, v24
	v_add_nc_u32_e32 v12, 0x400, v8
	v_pack_b32_f16 v13, v25, v30
	v_pack_b32_f16 v14, v31, v34
	;; [unrolled: 1-line block ×4, first 2 shown]
	v_add_nc_u32_e32 v5, 0x800, v8
	ds_store_2addr_b32 v8, v1, v2 offset0:150 offset1:200
	ds_store_2addr_b32 v9, v7, v3 offset0:122 offset1:172
	;; [unrolled: 1-line block ×5, first 2 shown]
.LBB0_9:
	s_wait_alu 0xfffe
	s_or_b32 exec_lo, exec_lo, s0
	global_wb scope:SCOPE_SE
	s_wait_dscnt 0x0
	s_barrier_signal -1
	s_barrier_wait -1
	global_inv scope:SCOPE_SE
	ds_load_2addr_b32 v[0:1], v44 offset1:65
	ds_load_2addr_b32 v[2:3], v44 offset0:130 offset1:195
	s_mov_b32 s8, 0x7f9b2ce6
	s_mov_b32 s9, 0x3f5934c6
	v_mad_co_u64_u32 v[16:17], null, s4, v49, 0
	s_wait_dscnt 0x1
	v_lshrrev_b32_e32 v4, 16, v0
	v_mul_f16_e32 v5, v58, v0
	v_lshrrev_b32_e32 v6, 16, v1
	v_mul_f16_e32 v7, v57, v1
	s_wait_dscnt 0x0
	v_lshrrev_b32_e32 v12, 16, v2
	v_mul_f16_e32 v8, v58, v4
	v_fma_f16 v5, v52, v4, -v5
	v_mul_f16_e32 v9, v57, v6
	v_fma_f16 v4, v53, v6, -v7
	v_mul_f16_e32 v10, v56, v12
	v_fmac_f16_e32 v8, v52, v0
	v_cvt_f32_f16_e32 v5, v5
	v_fmac_f16_e32 v9, v53, v1
	v_cvt_f32_f16_e32 v0, v4
	;; [unrolled: 2-line block ×3, first 2 shown]
	v_cvt_f64_f32_e32 v[4:5], v5
	v_mul_f16_e32 v2, v56, v2
	v_cvt_f64_f32_e32 v[6:7], v0
	v_cvt_f32_f16_e32 v10, v10
	v_cvt_f64_f32_e32 v[0:1], v8
	v_cvt_f32_f16_e32 v8, v9
	v_fma_f16 v2, v51, v12, -v2
	v_mad_co_u64_u32 v[12:13], null, s6, v20, 0
	v_cvt_f64_f32_e32 v[10:11], v10
	s_delay_alu instid0(VALU_DEP_4) | instskip(NEXT) | instid1(VALU_DEP_4)
	v_cvt_f64_f32_e32 v[8:9], v8
	v_cvt_f32_f16_e32 v2, v2
	v_lshrrev_b32_e32 v21, 16, v3
	s_delay_alu instid0(VALU_DEP_2) | instskip(SKIP_1) | instid1(VALU_DEP_1)
	v_cvt_f64_f32_e32 v[14:15], v2
	v_mov_b32_e32 v2, v13
	v_mad_co_u64_u32 v[18:19], null, s7, v20, v[2:3]
	v_mov_b32_e32 v2, v17
	s_delay_alu instid0(VALU_DEP_1) | instskip(SKIP_1) | instid1(VALU_DEP_4)
	v_mad_co_u64_u32 v[19:20], null, s5, v49, v[2:3]
	v_mul_f16_e32 v2, v55, v21
	v_mov_b32_e32 v13, v18
	s_delay_alu instid0(VALU_DEP_2) | instskip(NEXT) | instid1(VALU_DEP_4)
	v_fmac_f16_e32 v2, v48, v3
	v_mov_b32_e32 v17, v19
	s_wait_alu 0xfffe
	v_mul_f64_e32 v[4:5], s[8:9], v[4:5]
	v_lshlrev_b64_e32 v[12:13], 2, v[12:13]
	v_mul_f64_e32 v[6:7], s[8:9], v[6:7]
	v_cvt_f32_f16_e32 v2, v2
	v_mul_f64_e32 v[0:1], s[8:9], v[0:1]
	v_mul_f16_e32 v3, v55, v3
	v_add_co_u32 v18, vcc_lo, s2, v12
	v_mul_f64_e32 v[10:11], s[8:9], v[10:11]
	v_mul_f64_e32 v[8:9], s[8:9], v[8:9]
	s_wait_alu 0xfffd
	v_add_co_ci_u32_e32 v19, vcc_lo, s3, v13, vcc_lo
	v_cvt_f64_f32_e32 v[12:13], v2
	v_fma_f16 v3, v48, v21, -v3
	v_mul_f64_e32 v[14:15], s[8:9], v[14:15]
	v_and_or_b32 v2, 0x1ff, v5, v4
	v_lshrrev_b32_e32 v4, 8, v5
	v_and_or_b32 v6, 0x1ff, v7, v6
	v_bfe_u32 v20, v5, 20, 11
	v_and_or_b32 v0, 0x1ff, v1, v0
	v_cmp_ne_u32_e32 vcc_lo, 0, v2
	v_lshrrev_b32_e32 v22, 8, v7
	v_bfe_u32 v23, v7, 20, 11
	v_bfe_u32 v25, v1, 20, 11
	v_and_or_b32 v10, 0x1ff, v11, v10
	s_wait_alu 0xfffd
	v_cndmask_b32_e64 v2, 0, 1, vcc_lo
	v_cmp_ne_u32_e32 vcc_lo, 0, v6
	v_and_or_b32 v8, 0x1ff, v9, v8
	v_lshrrev_b32_e32 v24, 8, v1
	v_sub_nc_u32_e32 v26, 0x3f1, v20
	v_and_or_b32 v2, 0xffe, v4, v2
	s_wait_alu 0xfffd
	v_cndmask_b32_e64 v6, 0, 1, vcc_lo
	v_cmp_ne_u32_e32 vcc_lo, 0, v0
	v_add_nc_u32_e32 v20, 0xfffffc10, v20
	v_sub_nc_u32_e32 v29, 0x3f1, v23
	v_sub_nc_u32_e32 v32, 0x3f1, v25
	v_and_or_b32 v6, 0xffe, v22, v6
	s_wait_alu 0xfffd
	v_cndmask_b32_e64 v0, 0, 1, vcc_lo
	v_cmp_ne_u32_e32 vcc_lo, 0, v8
	v_lshrrev_b32_e32 v27, 8, v9
	v_med3_i32 v4, v26, 0, 13
	v_med3_i32 v22, v29, 0, 13
	v_and_or_b32 v0, 0xffe, v24, v0
	s_wait_alu 0xfffd
	v_cndmask_b32_e64 v8, 0, 1, vcc_lo
	v_cmp_ne_u32_e32 vcc_lo, 0, v10
	v_med3_i32 v24, v32, 0, 13
	v_or_b32_e32 v29, 0x1000, v2
	v_lshl_or_b32 v32, v20, 12, v2
	v_add_nc_u32_e32 v23, 0xfffffc10, v23
	s_wait_alu 0xfffd
	v_cndmask_b32_e64 v10, 0, 1, vcc_lo
	v_cmp_ne_u32_e32 vcc_lo, 0, v2
	v_bfe_u32 v28, v9, 20, 11
	v_and_or_b32 v8, 0xffe, v27, v8
	v_or_b32_e32 v27, 0x1000, v6
	v_lshl_or_b32 v33, v23, 12, v6
	s_wait_alu 0xfffd
	v_cndmask_b32_e64 v2, 0, 1, vcc_lo
	v_cmp_ne_u32_e32 vcc_lo, 0, v6
	v_add_nc_u32_e32 v25, 0xfffffc10, v25
	v_lshrrev_b32_e32 v36, v4, v29
	v_sub_nc_u32_e32 v26, 0x3f1, v28
	v_add_nc_u32_e32 v28, 0xfffffc10, v28
	s_wait_alu 0xfffd
	v_cndmask_b32_e64 v6, 0, 1, vcc_lo
	v_cmp_ne_u32_e32 vcc_lo, 0, v0
	v_or_b32_e32 v34, 0x1000, v0
	v_lshl_or_b32 v35, v25, 12, v0
	v_lshrrev_b32_e32 v52, v22, v27
	v_lshlrev_b32_e32 v4, v4, v36
	s_wait_alu 0xfffd
	v_cndmask_b32_e64 v0, 0, 1, vcc_lo
	v_cmp_ne_u32_e32 vcc_lo, 0, v8
	v_med3_i32 v26, v26, 0, 13
	v_or_b32_e32 v49, 0x1000, v8
	v_lshl_or_b32 v51, v28, 12, v8
	v_lshrrev_b32_e32 v53, v24, v34
	s_wait_alu 0xfffd
	v_cndmask_b32_e64 v8, 0, 1, vcc_lo
	v_lshlrev_b32_e32 v22, v22, v52
	v_cmp_ne_u32_e32 vcc_lo, v4, v29
	v_lshrrev_b32_e32 v56, v26, v49
	v_lshl_or_b32 v2, v2, 9, 0x7c00
	v_lshl_or_b32 v8, v8, 9, 0x7c00
	v_lshlrev_b32_e32 v24, v24, v53
	s_wait_alu 0xfffd
	v_cndmask_b32_e64 v4, 0, 1, vcc_lo
	v_cmp_ne_u32_e32 vcc_lo, v22, v27
	v_lshlrev_b32_e32 v26, v26, v56
	v_lshl_or_b32 v0, v0, 9, 0x7c00
	v_lshrrev_b32_e32 v1, 16, v1
	v_or_b32_e32 v4, v36, v4
	s_wait_alu 0xfffd
	v_cndmask_b32_e64 v22, 0, 1, vcc_lo
	v_cmp_ne_u32_e32 vcc_lo, v24, v34
	v_lshrrev_b32_e32 v5, 16, v5
	v_lshrrev_b32_e32 v30, 8, v11
	v_bfe_u32 v31, v11, 20, 11
	v_or_b32_e32 v22, v52, v22
	s_wait_alu 0xfffd
	v_cndmask_b32_e64 v24, 0, 1, vcc_lo
	v_cmp_ne_u32_e32 vcc_lo, v26, v49
	v_and_or_b32 v10, 0xffe, v30, v10
	v_lshrrev_b32_e32 v7, 16, v7
	v_and_or_b32 v14, 0x1ff, v15, v14
	v_or_b32_e32 v24, v53, v24
	s_wait_alu 0xfffd
	v_cndmask_b32_e64 v26, 0, 1, vcc_lo
	v_cmp_gt_i32_e32 vcc_lo, 1, v20
	v_lshrrev_b32_e32 v11, 16, v11
	s_delay_alu instid0(VALU_DEP_3)
	v_or_b32_e32 v26, v56, v26
	s_wait_alu 0xfffd
	v_cndmask_b32_e32 v4, v32, v4, vcc_lo
	v_cmp_gt_i32_e32 vcc_lo, 1, v23
	s_wait_alu 0xfffd
	v_cndmask_b32_e32 v22, v33, v22, vcc_lo
	v_cmp_gt_i32_e32 vcc_lo, 1, v25
	s_delay_alu instid0(VALU_DEP_2)
	v_and_b32_e32 v32, 7, v22
	s_wait_alu 0xfffd
	v_cndmask_b32_e32 v24, v35, v24, vcc_lo
	v_cmp_gt_i32_e32 vcc_lo, 1, v28
	v_and_b32_e32 v27, 7, v4
	v_lshrrev_b32_e32 v4, 2, v4
	v_cmp_lt_i32_e64 s3, 5, v32
	v_lshrrev_b32_e32 v22, 2, v22
	s_wait_alu 0xfffd
	v_cndmask_b32_e32 v26, v51, v26, vcc_lo
	v_cmp_lt_i32_e32 vcc_lo, 5, v27
	v_cmp_eq_u32_e64 s2, 3, v27
	s_delay_alu instid0(VALU_DEP_3) | instskip(SKIP_2) | instid1(VALU_DEP_4)
	v_and_b32_e32 v27, 7, v26
	v_and_b32_e32 v29, 7, v24
	v_lshrrev_b32_e32 v24, 2, v24
	s_or_b32 vcc_lo, s2, vcc_lo
	v_lshrrev_b32_e32 v26, 2, v26
	s_wait_alu 0xfffe
	v_add_co_ci_u32_e32 v4, vcc_lo, 0, v4, vcc_lo
	v_cmp_lt_i32_e64 s0, 5, v29
	v_cmp_eq_u32_e64 s1, 3, v29
	v_cmp_lt_i32_e32 vcc_lo, 5, v27
	s_delay_alu instid0(VALU_DEP_2)
	s_or_b32 s0, s1, s0
	v_cmp_gt_i32_e64 s1, 31, v20
	s_wait_alu 0xfffe
	v_add_co_ci_u32_e64 v24, s0, 0, v24, s0
	v_cmp_gt_i32_e64 s0, 31, v25
	s_wait_alu 0xf1ff
	v_cndmask_b32_e64 v4, 0x7c00, v4, s1
	v_cmp_eq_u32_e64 s1, 0x40f, v25
	s_delay_alu instid0(VALU_DEP_3) | instskip(SKIP_2) | instid1(VALU_DEP_2)
	v_cndmask_b32_e64 v24, 0x7c00, v24, s0
	v_cmp_eq_u32_e64 s0, 3, v27
	s_wait_alu 0xf1ff
	v_cndmask_b32_e64 v0, v24, v0, s1
	s_delay_alu instid0(VALU_DEP_2)
	s_or_b32 vcc_lo, s0, vcc_lo
	v_cmp_gt_i32_e64 s0, 31, v28
	s_wait_alu 0xfffe
	v_add_co_ci_u32_e32 v24, vcc_lo, 0, v26, vcc_lo
	v_cmp_eq_u32_e32 vcc_lo, 0x40f, v20
	v_and_or_b32 v0, 0x8000, v1, v0
	s_wait_alu 0xf1ff
	s_delay_alu instid0(VALU_DEP_3)
	v_cndmask_b32_e64 v1, 0x7c00, v24, s0
	v_add_nc_u32_e32 v24, 0x400, v44
	s_wait_alu 0xfffd
	v_cndmask_b32_e32 v2, v4, v2, vcc_lo
	v_cmp_eq_u32_e32 vcc_lo, 3, v32
	v_and_b32_e32 v0, 0xffff, v0
	s_delay_alu instid0(VALU_DEP_3)
	v_and_or_b32 v2, 0x8000, v5, v2
	s_or_b32 vcc_lo, vcc_lo, s3
	s_mul_u64 s[2:3], s[4:5], 0x104
	s_wait_alu 0xfffe
	v_add_co_ci_u32_e32 v4, vcc_lo, 0, v22, vcc_lo
	v_cmp_eq_u32_e32 vcc_lo, 0x40f, v28
	v_lshl_or_b32 v20, v2, 16, v0
	v_sub_nc_u32_e32 v0, 0x3f1, v31
	v_lshl_or_b32 v2, v6, 9, 0x7c00
	s_wait_alu 0xfffd
	v_cndmask_b32_e32 v5, v1, v8, vcc_lo
	v_cmp_gt_i32_e32 vcc_lo, 31, v23
	v_med3_i32 v6, v0, 0, 13
	v_lshrrev_b32_e32 v8, 16, v9
	s_wait_alu 0xfffd
	v_cndmask_b32_e32 v1, 0x7c00, v4, vcc_lo
	v_or_b32_e32 v4, 0x1000, v10
	v_cmp_eq_u32_e32 vcc_lo, 0x40f, v23
	v_and_or_b32 v8, 0x8000, v8, v5
	s_delay_alu instid0(VALU_DEP_3)
	v_lshrrev_b32_e32 v9, v6, v4
	s_wait_alu 0xfffd
	v_cndmask_b32_e32 v2, v1, v2, vcc_lo
	v_lshlrev_b64_e32 v[0:1], 2, v[16:17]
	v_cmp_ne_u32_e32 vcc_lo, 0, v14
	v_bfe_u32 v17, v15, 20, 11
	v_add_nc_u32_e32 v14, 0xfffffc10, v31
	v_and_or_b32 v16, 0x8000, v7, v2
	v_lshlrev_b32_e32 v2, v6, v9
	s_wait_alu 0xfffd
	v_cndmask_b32_e64 v5, 0, 1, vcc_lo
	v_lshrrev_b32_e32 v6, 8, v15
	v_lshl_or_b32 v22, v14, 12, v10
	v_and_b32_e32 v8, 0xffff, v8
	v_cmp_ne_u32_e32 vcc_lo, v2, v4
	v_cvt_f32_f16_e32 v4, v3
	v_and_or_b32 v21, 0xffe, v6, v5
	v_sub_nc_u32_e32 v6, 0x3f1, v17
	v_lshl_or_b32 v16, v16, 16, v8
	s_wait_alu 0xfffd
	v_cndmask_b32_e64 v2, 0, 1, vcc_lo
	v_cvt_f64_f32_e32 v[4:5], v4
	v_cmp_gt_i32_e32 vcc_lo, 1, v14
	v_or_b32_e32 v23, 0x1000, v21
	v_add_nc_u32_e32 v17, 0xfffffc10, v17
	v_or_b32_e32 v9, v9, v2
	v_mul_f64_e32 v[2:3], s[8:9], v[12:13]
	v_med3_i32 v12, v6, 0, 13
	ds_load_2addr_b32 v[6:7], v24 offset0:4 offset1:69
	v_lshrrev_b32_e32 v15, 16, v15
	s_wait_alu 0xfffd
	v_cndmask_b32_e32 v13, v22, v9, vcc_lo
	v_add_co_u32 v0, vcc_lo, v18, v0
	v_lshrrev_b32_e32 v22, v12, v23
	s_wait_alu 0xfffd
	v_add_co_ci_u32_e32 v1, vcc_lo, v19, v1, vcc_lo
	v_and_b32_e32 v18, 7, v13
	v_add_co_u32 v8, vcc_lo, v0, s2
	v_lshlrev_b32_e32 v12, v12, v22
	s_wait_alu 0xfffd
	v_add_co_ci_u32_e32 v9, vcc_lo, s3, v1, vcc_lo
	v_cmp_lt_i32_e32 vcc_lo, 5, v18
	v_cmp_eq_u32_e64 s0, 3, v18
	v_lshrrev_b32_e32 v13, 2, v13
	v_cmp_ne_u32_e64 s1, v12, v23
	s_clause 0x1
	global_store_b32 v[0:1], v20, off
	global_store_b32 v[8:9], v16, off
	s_wait_dscnt 0x0
	v_lshrrev_b32_e32 v18, 16, v6
	s_or_b32 vcc_lo, s0, vcc_lo
	v_cndmask_b32_e64 v12, 0, 1, s1
	s_wait_alu 0xfffe
	v_add_co_ci_u32_e32 v13, vcc_lo, 0, v13, vcc_lo
	v_cmp_ne_u32_e32 vcc_lo, 0, v10
	v_mul_f16_e32 v19, v54, v18
	v_or_b32_e32 v12, v22, v12
	v_lshl_or_b32 v22, v17, 12, v21
	s_wait_alu 0xfffd
	v_cndmask_b32_e64 v10, 0, 1, vcc_lo
	v_cmp_gt_i32_e32 vcc_lo, 1, v17
	v_fmac_f16_e32 v19, v46, v6
	v_mul_f64_e32 v[4:5], s[8:9], v[4:5]
	v_mul_f16_e32 v6, v54, v6
	v_lshl_or_b32 v10, v10, 9, 0x7c00
	s_wait_alu 0xfffd
	v_cndmask_b32_e32 v22, v22, v12, vcc_lo
	v_and_or_b32 v2, 0x1ff, v3, v2
	v_cmp_gt_i32_e32 vcc_lo, 31, v14
	v_cvt_f32_f16_e32 v12, v19
	v_lshrrev_b32_e32 v25, 8, v3
	v_and_b32_e32 v23, 7, v22
	v_bfe_u32 v26, v3, 20, 11
	s_wait_alu 0xfffd
	v_cndmask_b32_e32 v19, 0x7c00, v13, vcc_lo
	v_cmp_ne_u32_e32 vcc_lo, 0, v2
	v_cvt_f64_f32_e32 v[12:13], v12
	v_cmp_eq_u32_e64 s0, 3, v23
	v_fma_f16 v6, v46, v18, -v6
	v_add_nc_u32_e32 v18, 0xfffffc10, v26
	s_wait_alu 0xfffd
	v_cndmask_b32_e64 v2, 0, 1, vcc_lo
	v_cmp_eq_u32_e32 vcc_lo, 0x40f, v14
	v_sub_nc_u32_e32 v14, 0x3f1, v26
	v_cvt_f32_f16_e32 v6, v6
	s_delay_alu instid0(VALU_DEP_4)
	v_and_or_b32 v2, 0xffe, v25, v2
	s_wait_alu 0xfffd
	v_cndmask_b32_e32 v10, v19, v10, vcc_lo
	v_cmp_lt_i32_e32 vcc_lo, 5, v23
	v_lshrrev_b32_e32 v19, 2, v22
	v_med3_i32 v14, v14, 0, 13
	v_or_b32_e32 v22, 0x1000, v2
	v_and_or_b32 v25, 0x8000, v11, v10
	s_or_b32 vcc_lo, s0, vcc_lo
	s_wait_alu 0xfffe
	v_add_co_ci_u32_e32 v19, vcc_lo, 0, v19, vcc_lo
	v_cmp_ne_u32_e32 vcc_lo, 0, v21
	v_lshrrev_b32_e32 v23, v14, v22
	s_wait_alu 0xfffd
	v_cndmask_b32_e64 v21, 0, 1, vcc_lo
	v_cmp_gt_i32_e32 vcc_lo, 31, v17
	s_delay_alu instid0(VALU_DEP_3) | instskip(SKIP_1) | instid1(VALU_DEP_4)
	v_lshlrev_b32_e32 v10, v14, v23
	v_and_or_b32 v4, 0x1ff, v5, v4
	v_lshl_or_b32 v21, v21, 9, 0x7c00
	s_wait_alu 0xfffd
	v_cndmask_b32_e32 v19, 0x7c00, v19, vcc_lo
	v_cmp_eq_u32_e32 vcc_lo, 0x40f, v17
	s_wait_alu 0xfffd
	s_delay_alu instid0(VALU_DEP_2)
	v_cndmask_b32_e32 v14, v19, v21, vcc_lo
	v_cmp_ne_u32_e32 vcc_lo, v10, v22
	v_cvt_f64_f32_e32 v[10:11], v6
	v_mul_f64_e32 v[12:13], s[8:9], v[12:13]
	v_lshrrev_b32_e32 v6, 8, v5
	v_bfe_u32 v19, v5, 20, 11
	s_wait_alu 0xfffd
	v_cndmask_b32_e64 v17, 0, 1, vcc_lo
	v_cmp_ne_u32_e32 vcc_lo, 0, v4
	v_and_or_b32 v14, 0x8000, v15, v14
	v_and_b32_e32 v21, 0xffff, v25
	s_delay_alu instid0(VALU_DEP_4)
	v_or_b32_e32 v15, v23, v17
	s_wait_alu 0xfffd
	v_cndmask_b32_e64 v4, 0, 1, vcc_lo
	v_lshl_or_b32 v17, v18, 12, v2
	v_cmp_gt_i32_e32 vcc_lo, 1, v18
	v_lshl_or_b32 v14, v14, 16, v21
	s_delay_alu instid0(VALU_DEP_4)
	v_and_or_b32 v4, 0xffe, v6, v4
	v_sub_nc_u32_e32 v6, 0x3f1, v19
	s_wait_alu 0xfffd
	v_cndmask_b32_e32 v15, v17, v15, vcc_lo
	v_add_co_u32 v0, vcc_lo, v8, s2
	v_or_b32_e32 v17, 0x1000, v4
	v_med3_i32 v6, v6, 0, 13
	s_delay_alu instid0(VALU_DEP_4)
	v_and_b32_e32 v16, 7, v15
	s_wait_alu 0xfffd
	v_add_co_ci_u32_e32 v1, vcc_lo, s3, v9, vcc_lo
	v_lshrrev_b32_e32 v8, 2, v15
	v_lshrrev_b32_e32 v20, v6, v17
	v_cmp_lt_i32_e32 vcc_lo, 5, v16
	v_cmp_eq_u32_e64 s0, 3, v16
	v_lshrrev_b32_e32 v16, 16, v7
	v_add_nc_u32_e32 v15, 0xfffffc10, v19
	v_lshlrev_b32_e32 v6, v6, v20
	global_store_b32 v[0:1], v14, off
	s_or_b32 vcc_lo, s0, vcc_lo
	s_wait_alu 0xfffe
	v_add_co_ci_u32_e32 v19, vcc_lo, 0, v8, vcc_lo
	v_cmp_ne_u32_e64 s1, v6, v17
	v_cmp_ne_u32_e32 vcc_lo, 0, v2
	v_mul_f16_e32 v17, v50, v16
	v_mul_f64_e32 v[8:9], s[8:9], v[10:11]
	v_lshl_or_b32 v10, v15, 12, v4
	s_wait_alu 0xf1ff
	v_cndmask_b32_e64 v6, 0, 1, s1
	v_and_or_b32 v11, 0x1ff, v13, v12
	s_wait_alu 0xfffd
	v_cndmask_b32_e64 v2, 0, 1, vcc_lo
	v_cmp_gt_i32_e32 vcc_lo, 1, v15
	v_fmac_f16_e32 v17, v43, v7
	v_or_b32_e32 v6, v20, v6
	v_lshrrev_b32_e32 v20, 8, v13
	v_lshl_or_b32 v2, v2, 9, 0x7c00
	v_mul_f16_e32 v7, v50, v7
	v_cvt_f32_f16_e32 v12, v17
	s_wait_alu 0xfffd
	v_cndmask_b32_e32 v6, v10, v6, vcc_lo
	v_cmp_ne_u32_e32 vcc_lo, 0, v11
	v_fma_f16 v7, v43, v16, -v7
	v_cvt_f64_f32_e32 v[10:11], v12
	v_bfe_u32 v12, v13, 20, 11
	s_wait_alu 0xfffd
	v_cndmask_b32_e64 v17, 0, 1, vcc_lo
	v_cmp_gt_i32_e32 vcc_lo, 31, v18
	v_and_b32_e32 v21, 7, v6
	v_lshrrev_b32_e32 v16, 16, v3
	v_lshrrev_b32_e32 v3, 2, v6
	v_and_or_b32 v17, 0xffe, v20, v17
	s_wait_alu 0xfffd
	v_cndmask_b32_e32 v19, 0x7c00, v19, vcc_lo
	v_cmp_eq_u32_e32 vcc_lo, 0x40f, v18
	v_sub_nc_u32_e32 v20, 0x3f1, v12
	v_cmp_eq_u32_e64 s0, 3, v21
	v_cvt_f32_f16_e32 v6, v7
	v_add_nc_u32_e32 v12, 0xfffffc10, v12
	s_wait_alu 0xfffd
	v_cndmask_b32_e32 v18, v19, v2, vcc_lo
	v_cmp_lt_i32_e32 vcc_lo, 5, v21
	v_or_b32_e32 v19, 0x1000, v17
	v_med3_i32 v2, v20, 0, 13
	v_lshrrev_b32_e32 v13, 16, v13
	s_or_b32 vcc_lo, s0, vcc_lo
	s_wait_alu 0xfffe
	v_add_co_ci_u32_e32 v7, vcc_lo, 0, v3, vcc_lo
	v_lshrrev_b32_e32 v20, v2, v19
	v_cmp_ne_u32_e32 vcc_lo, 0, v4
	v_lshrrev_b32_e32 v22, 8, v9
	v_bfe_u32 v23, v9, 20, 11
	s_delay_alu instid0(VALU_DEP_4)
	v_lshlrev_b32_e32 v21, v2, v20
	s_wait_alu 0xfffd
	v_cndmask_b32_e64 v4, 0, 1, vcc_lo
	v_cmp_gt_i32_e32 vcc_lo, 31, v15
	v_cvt_f64_f32_e32 v[2:3], v6
	v_and_or_b32 v6, 0x1ff, v9, v8
	v_and_or_b32 v16, 0x8000, v16, v18
	v_lshl_or_b32 v4, v4, 9, 0x7c00
	s_wait_alu 0xfffd
	v_cndmask_b32_e32 v8, 0x7c00, v7, vcc_lo
	v_cmp_ne_u32_e32 vcc_lo, v21, v19
	v_lshrrev_b32_e32 v9, 16, v9
	v_and_b32_e32 v14, 0xffff, v16
	s_wait_alu 0xfffd
	v_cndmask_b32_e64 v19, 0, 1, vcc_lo
	v_cmp_ne_u32_e32 vcc_lo, 0, v6
	v_mul_f64_e32 v[6:7], s[8:9], v[10:11]
	v_sub_nc_u32_e32 v11, 0x3f1, v23
	s_delay_alu instid0(VALU_DEP_4)
	v_or_b32_e32 v10, v20, v19
	s_wait_alu 0xfffd
	v_cndmask_b32_e64 v21, 0, 1, vcc_lo
	v_cmp_eq_u32_e32 vcc_lo, 0x40f, v15
	v_lshl_or_b32 v20, v12, 12, v17
	v_med3_i32 v11, v11, 0, 13
	s_delay_alu instid0(VALU_DEP_4) | instskip(SKIP_3) | instid1(VALU_DEP_3)
	v_and_or_b32 v19, 0xffe, v22, v21
	s_wait_alu 0xfffd
	v_cndmask_b32_e32 v8, v8, v4, vcc_lo
	v_cmp_gt_i32_e32 vcc_lo, 1, v12
	v_or_b32_e32 v15, 0x1000, v19
	s_wait_alu 0xfffd
	v_cndmask_b32_e32 v10, v20, v10, vcc_lo
	v_lshrrev_b32_e32 v20, 16, v5
	ds_load_2addr_b32 v[4:5], v24 offset0:134 offset1:199
	v_lshrrev_b32_e32 v21, v11, v15
	v_and_b32_e32 v18, 7, v10
	v_lshrrev_b32_e32 v10, 2, v10
	s_delay_alu instid0(VALU_DEP_3) | instskip(NEXT) | instid1(VALU_DEP_3)
	v_lshlrev_b32_e32 v11, v11, v21
	v_cmp_lt_i32_e32 vcc_lo, 5, v18
	v_cmp_eq_u32_e64 s0, 3, v18
	v_mul_f64_e32 v[2:3], s[8:9], v[2:3]
	s_delay_alu instid0(VALU_DEP_4)
	v_cmp_ne_u32_e64 s1, v11, v15
	v_add_nc_u32_e32 v15, 0xfffffc10, v23
	v_and_or_b32 v8, 0x8000, v20, v8
	s_or_b32 vcc_lo, s0, vcc_lo
	s_wait_alu 0xfffe
	v_add_co_ci_u32_e32 v10, vcc_lo, 0, v10, vcc_lo
	v_cndmask_b32_e64 v11, 0, 1, s1
	v_cmp_ne_u32_e32 vcc_lo, 0, v17
	v_lshl_or_b32 v16, v15, 12, v19
	s_wait_dscnt 0x0
	v_lshrrev_b32_e32 v18, 16, v4
	v_and_or_b32 v6, 0x1ff, v7, v6
	v_or_b32_e32 v11, v21, v11
	s_wait_alu 0xfffd
	v_cndmask_b32_e64 v17, 0, 1, vcc_lo
	v_cmp_gt_i32_e32 vcc_lo, 1, v15
	v_lshrrev_b32_e32 v21, 8, v7
	v_bfe_u32 v22, v7, 20, 11
	v_lshl_or_b32 v14, v8, 16, v14
	v_lshl_or_b32 v17, v17, 9, 0x7c00
	s_wait_alu 0xfffd
	v_cndmask_b32_e32 v16, v16, v11, vcc_lo
	v_mul_f16_e32 v11, v47, v18
	v_cmp_gt_i32_e32 vcc_lo, 31, v12
	s_delay_alu instid0(VALU_DEP_3) | instskip(NEXT) | instid1(VALU_DEP_3)
	v_and_b32_e32 v20, 7, v16
	v_fmac_f16_e32 v11, v41, v4
	s_wait_alu 0xfffd
	v_cndmask_b32_e32 v10, 0x7c00, v10, vcc_lo
	v_cmp_ne_u32_e32 vcc_lo, 0, v6
	v_lshrrev_b32_e32 v16, 2, v16
	v_cmp_eq_u32_e64 s0, 3, v20
	v_cvt_f32_f16_e32 v11, v11
	v_mul_f16_e32 v4, v47, v4
	s_wait_alu 0xfffd
	v_cndmask_b32_e64 v6, 0, 1, vcc_lo
	v_cmp_eq_u32_e32 vcc_lo, 0x40f, v12
	s_delay_alu instid0(VALU_DEP_3) | instskip(NEXT) | instid1(VALU_DEP_3)
	v_fma_f16 v4, v41, v18, -v4
	v_and_or_b32 v6, 0xffe, v21, v6
	s_wait_alu 0xfffd
	v_cndmask_b32_e32 v12, v10, v17, vcc_lo
	v_cvt_f64_f32_e32 v[10:11], v11
	v_cmp_lt_i32_e32 vcc_lo, 5, v20
	v_sub_nc_u32_e32 v17, 0x3f1, v22
	v_or_b32_e32 v20, 0x1000, v6
	v_and_or_b32 v2, 0x1ff, v3, v2
	v_and_or_b32 v23, 0x8000, v13, v12
	s_or_b32 vcc_lo, s0, vcc_lo
	v_med3_i32 v17, v17, 0, 13
	s_wait_alu 0xfffe
	v_add_co_ci_u32_e32 v16, vcc_lo, 0, v16, vcc_lo
	v_cmp_gt_i32_e32 vcc_lo, 31, v15
	v_lshrrev_b32_e32 v13, 8, v3
	v_lshrrev_b32_e32 v21, v17, v20
	v_cvt_f32_f16_e32 v4, v4
	v_add_nc_u32_e32 v18, 0xfffffc10, v22
	s_wait_alu 0xfffd
	v_cndmask_b32_e32 v16, 0x7c00, v16, vcc_lo
	v_cmp_ne_u32_e32 vcc_lo, 0, v2
	v_lshlrev_b32_e32 v12, v17, v21
	v_bfe_u32 v17, v3, 20, 11
	s_wait_alu 0xfffd
	v_cndmask_b32_e64 v2, 0, 1, vcc_lo
	v_cmp_ne_u32_e32 vcc_lo, 0, v19
	s_delay_alu instid0(VALU_DEP_2)
	v_and_or_b32 v2, 0xffe, v13, v2
	s_wait_alu 0xfffd
	v_cndmask_b32_e64 v19, 0, 1, vcc_lo
	v_cmp_ne_u32_e32 vcc_lo, v12, v20
	v_sub_nc_u32_e32 v13, 0x3f1, v17
	v_add_nc_u32_e32 v17, 0xfffffc10, v17
	v_or_b32_e32 v20, 0x1000, v2
	v_lshl_or_b32 v19, v19, 9, 0x7c00
	s_wait_alu 0xfffd
	v_cndmask_b32_e64 v12, 0, 1, vcc_lo
	v_med3_i32 v22, v13, 0, 13
	v_cmp_eq_u32_e32 vcc_lo, 0x40f, v15
	v_cmp_gt_i32_e64 s1, 1, v17
	v_mul_f64_e32 v[10:11], s[8:9], v[10:11]
	v_or_b32_e32 v21, v21, v12
	v_cvt_f64_f32_e32 v[12:13], v4
	v_lshrrev_b32_e32 v24, v22, v20
	v_lshl_or_b32 v4, v18, 12, v6
	s_wait_alu 0xfffd
	v_cndmask_b32_e32 v15, v16, v19, vcc_lo
	v_cmp_gt_i32_e32 vcc_lo, 1, v18
	v_lshlrev_b32_e32 v16, v22, v24
	s_delay_alu instid0(VALU_DEP_3) | instskip(SKIP_2) | instid1(VALU_DEP_3)
	v_and_or_b32 v8, 0x8000, v9, v15
	s_wait_alu 0xfffd
	v_dual_cndmask_b32 v4, v4, v21 :: v_dual_and_b32 v9, 0xffff, v23
	v_cmp_ne_u32_e32 vcc_lo, v16, v20
	s_delay_alu instid0(VALU_DEP_2) | instskip(NEXT) | instid1(VALU_DEP_3)
	v_and_b32_e32 v15, 7, v4
	v_lshl_or_b32 v19, v8, 16, v9
	s_wait_alu 0xfffd
	v_cndmask_b32_e64 v16, 0, 1, vcc_lo
	v_add_co_u32 v0, vcc_lo, v0, s2
	s_wait_alu 0xfffd
	v_add_co_ci_u32_e32 v1, vcc_lo, s3, v1, vcc_lo
	s_delay_alu instid0(VALU_DEP_3)
	v_or_b32_e32 v8, v24, v16
	v_lshrrev_b32_e32 v16, 16, v5
	v_cmp_lt_i32_e32 vcc_lo, 5, v15
	v_cmp_eq_u32_e64 s0, 3, v15
	v_lshrrev_b32_e32 v4, 2, v4
	v_lshl_or_b32 v9, v17, 12, v2
	v_mul_f16_e32 v20, v45, v16
	s_delay_alu instid0(VALU_DEP_4)
	s_or_b32 vcc_lo, s0, vcc_lo
	s_wait_alu 0xfffe
	v_add_co_ci_u32_e32 v4, vcc_lo, 0, v4, vcc_lo
	v_cmp_ne_u32_e32 vcc_lo, 0, v6
	v_cndmask_b32_e64 v15, v9, v8, s1
	v_fmac_f16_e32 v20, v39, v5
	v_and_or_b32 v10, 0x1ff, v11, v10
	v_mul_f64_e32 v[8:9], s[8:9], v[12:13]
	s_wait_alu 0xfffd
	v_cndmask_b32_e64 v6, 0, 1, vcc_lo
	v_cmp_gt_i32_e32 vcc_lo, 31, v18
	v_cmp_ne_u32_e64 s1, 0, v10
	v_cvt_f32_f16_e32 v12, v20
	v_and_b32_e32 v21, 7, v15
	v_lshl_or_b32 v6, v6, 9, 0x7c00
	s_wait_alu 0xfffd
	v_cndmask_b32_e32 v4, 0x7c00, v4, vcc_lo
	s_wait_alu 0xf1ff
	v_cndmask_b32_e64 v10, 0, 1, s1
	v_cmp_eq_u32_e64 s1, 0x40f, v18
	v_cvt_f64_f32_e32 v[12:13], v12
	v_cmp_lt_i32_e32 vcc_lo, 5, v21
	v_cmp_eq_u32_e64 s0, 3, v21
	v_lshrrev_b32_e32 v20, 8, v11
	v_bfe_u32 v21, v11, 20, 11
	s_wait_alu 0xf1ff
	v_cndmask_b32_e64 v4, v4, v6, s1
	v_lshrrev_b32_e32 v6, 2, v15
	s_or_b32 vcc_lo, s0, vcc_lo
	v_and_or_b32 v10, 0xffe, v20, v10
	v_sub_nc_u32_e32 v15, 0x3f1, v21
	v_lshrrev_b32_e32 v20, 16, v7
	s_wait_alu 0xfffe
	v_add_co_ci_u32_e32 v6, vcc_lo, 0, v6, vcc_lo
	v_cmp_ne_u32_e32 vcc_lo, 0, v2
	v_or_b32_e32 v18, 0x1000, v10
	v_med3_i32 v15, v15, 0, 13
	v_and_or_b32 v20, 0x8000, v20, v4
	v_lshrrev_b32_e32 v11, 16, v11
	s_wait_alu 0xfffd
	v_cndmask_b32_e64 v2, 0, 1, vcc_lo
	v_cmp_gt_i32_e32 vcc_lo, 31, v17
	v_lshrrev_b32_e32 v23, v15, v18
	s_delay_alu instid0(VALU_DEP_3)
	v_lshl_or_b32 v2, v2, 9, 0x7c00
	s_wait_alu 0xfffd
	v_cndmask_b32_e32 v22, 0x7c00, v6, vcc_lo
	v_add_co_u32 v6, vcc_lo, v0, s2
	s_wait_alu 0xfffd
	v_add_co_ci_u32_e32 v7, vcc_lo, s3, v1, vcc_lo
	v_lshlrev_b32_e32 v4, v15, v23
	v_cmp_eq_u32_e32 vcc_lo, 0x40f, v17
	s_wait_alu 0xfffd
	v_cndmask_b32_e32 v15, v22, v2, vcc_lo
	v_and_or_b32 v2, 0x1ff, v9, v8
	v_cmp_ne_u32_e32 vcc_lo, v4, v18
	v_mul_f16_e32 v4, v45, v5
	v_lshrrev_b32_e32 v8, 16, v3
	v_lshrrev_b32_e32 v18, 8, v9
	v_bfe_u32 v22, v9, 20, 11
	s_wait_alu 0xfffd
	v_cndmask_b32_e64 v17, 0, 1, vcc_lo
	v_cmp_ne_u32_e32 vcc_lo, 0, v2
	v_mul_f64_e32 v[2:3], s[8:9], v[12:13]
	v_fma_f16 v4, v39, v16, -v4
	v_add_nc_u32_e32 v12, 0x800, v44
	v_add_nc_u32_e32 v16, 0xfffffc10, v21
	s_wait_alu 0xfffd
	v_cndmask_b32_e64 v5, 0, 1, vcc_lo
	v_sub_nc_u32_e32 v21, 0x3f1, v22
	v_cvt_f32_f16_e32 v13, v4
	v_or_b32_e32 v17, v23, v17
	v_lshl_or_b32 v23, v16, 12, v10
	v_and_or_b32 v18, 0xffe, v18, v5
	ds_load_2addr_b32 v[4:5], v12 offset0:8 offset1:73
	v_med3_i32 v21, v21, 0, 13
	v_cvt_f64_f32_e32 v[12:13], v13
	v_and_or_b32 v8, 0x8000, v8, v15
	v_or_b32_e32 v24, 0x1000, v18
	v_and_b32_e32 v15, 0xffff, v20
	v_cmp_gt_i32_e32 vcc_lo, 1, v16
	s_clause 0x1
	global_store_b32 v[0:1], v14, off
	global_store_b32 v[6:7], v19, off
	v_cmp_eq_u32_e64 s1, 0x40f, v16
	v_lshrrev_b32_e32 v20, v21, v24
	v_lshl_or_b32 v14, v8, 16, v15
	s_wait_alu 0xfffd
	v_cndmask_b32_e32 v17, v23, v17, vcc_lo
	v_add_co_u32 v0, vcc_lo, v6, s2
	v_lshlrev_b32_e32 v15, v21, v20
	s_wait_alu 0xfffd
	v_add_co_ci_u32_e32 v1, vcc_lo, s3, v7, vcc_lo
	v_and_b32_e32 v8, 7, v17
	v_lshrrev_b32_e32 v9, 16, v9
	v_cmp_ne_u32_e64 s0, v15, v24
	s_wait_dscnt 0x0
	v_lshrrev_b32_e32 v19, 16, v4
	v_add_nc_u32_e32 v15, 0xfffffc10, v22
	v_cmp_lt_i32_e32 vcc_lo, 5, v8
	s_wait_alu 0xf1ff
	v_cndmask_b32_e64 v6, 0, 1, s0
	v_cmp_eq_u32_e64 s0, 3, v8
	v_lshrrev_b32_e32 v8, 2, v17
	v_mul_f16_e32 v7, v42, v19
	v_lshl_or_b32 v17, v15, 12, v18
	v_or_b32_e32 v6, v20, v6
	s_or_b32 vcc_lo, s0, vcc_lo
	v_and_or_b32 v2, 0x1ff, v3, v2
	s_wait_alu 0xfffe
	v_add_co_ci_u32_e32 v8, vcc_lo, 0, v8, vcc_lo
	v_fmac_f16_e32 v7, v38, v4
	v_cmp_gt_i32_e32 vcc_lo, 1, v15
	v_lshrrev_b32_e32 v20, 8, v3
	v_bfe_u32 v21, v3, 20, 11
	v_mul_f16_e32 v4, v42, v4
	v_cvt_f32_f16_e32 v7, v7
	s_wait_alu 0xfffd
	v_cndmask_b32_e32 v17, v17, v6, vcc_lo
	v_cmp_ne_u32_e32 vcc_lo, 0, v2
	v_mul_f64_e32 v[12:13], s[8:9], v[12:13]
	v_fma_f16 v4, v38, v19, -v4
	v_cvt_f64_f32_e32 v[6:7], v7
	v_and_b32_e32 v22, 7, v17
	s_wait_alu 0xfffd
	v_cndmask_b32_e64 v2, 0, 1, vcc_lo
	v_cmp_ne_u32_e32 vcc_lo, 0, v10
	v_lshrrev_b32_e32 v17, 2, v17
	v_cvt_f32_f16_e32 v4, v4
	v_cmp_eq_u32_e64 s0, 3, v22
	v_and_or_b32 v2, 0xffe, v20, v2
	s_wait_alu 0xfffd
	v_cndmask_b32_e64 v10, 0, 1, vcc_lo
	v_cmp_gt_i32_e32 vcc_lo, 31, v16
	v_sub_nc_u32_e32 v20, 0x3f1, v21
	v_or_b32_e32 v23, 0x1000, v2
	s_delay_alu instid0(VALU_DEP_4) | instskip(SKIP_4) | instid1(VALU_DEP_3)
	v_lshl_or_b32 v10, v10, 9, 0x7c00
	s_wait_alu 0xfffd
	v_cndmask_b32_e32 v8, 0x7c00, v8, vcc_lo
	v_cmp_lt_i32_e32 vcc_lo, 5, v22
	v_med3_i32 v20, v20, 0, 13
	v_cndmask_b32_e64 v8, v8, v10, s1
	s_or_b32 vcc_lo, s0, vcc_lo
	s_delay_alu instid0(VALU_DEP_2)
	v_lshrrev_b32_e32 v10, v20, v23
	s_wait_alu 0xfffe
	v_add_co_ci_u32_e32 v16, vcc_lo, 0, v17, vcc_lo
	v_cmp_ne_u32_e32 vcc_lo, 0, v18
	v_and_or_b32 v11, 0x8000, v11, v8
	v_lshlrev_b32_e32 v18, v20, v10
	v_add_nc_u32_e32 v20, 0xfffffc10, v21
	s_wait_alu 0xfffd
	v_cndmask_b32_e64 v17, 0, 1, vcc_lo
	v_cmp_gt_i32_e32 vcc_lo, 31, v15
	s_delay_alu instid0(VALU_DEP_2)
	v_lshl_or_b32 v17, v17, 9, 0x7c00
	s_wait_alu 0xfffd
	v_cndmask_b32_e32 v16, 0x7c00, v16, vcc_lo
	v_cmp_ne_u32_e32 vcc_lo, v18, v23
	v_and_or_b32 v12, 0x1ff, v13, v12
	v_mul_f64_e32 v[6:7], s[8:9], v[6:7]
	s_wait_alu 0xfffd
	v_cndmask_b32_e64 v18, 0, 1, vcc_lo
	v_cmp_eq_u32_e32 vcc_lo, 0x40f, v15
	v_lshl_or_b32 v15, v20, 12, v2
	s_delay_alu instid0(VALU_DEP_3) | instskip(SKIP_4) | instid1(VALU_DEP_3)
	v_or_b32_e32 v10, v10, v18
	s_wait_alu 0xfffd
	v_cndmask_b32_e32 v8, v16, v17, vcc_lo
	v_cmp_gt_i32_e32 vcc_lo, 1, v20
	v_bfe_u32 v16, v13, 20, 11
	v_and_or_b32 v17, 0x8000, v9, v8
	s_wait_alu 0xfffd
	v_cndmask_b32_e32 v10, v15, v10, vcc_lo
	v_cmp_ne_u32_e32 vcc_lo, 0, v12
	v_lshrrev_b32_e32 v15, 8, v13
	v_cvt_f64_f32_e32 v[8:9], v4
	v_sub_nc_u32_e32 v4, 0x3f1, v16
	v_and_b32_e32 v18, 7, v10
	s_wait_alu 0xfffd
	v_cndmask_b32_e64 v12, 0, 1, vcc_lo
	v_lshrrev_b32_e32 v10, 2, v10
	v_add_nc_u32_e32 v16, 0xfffffc10, v16
	v_med3_i32 v4, v4, 0, 13
	v_cmp_lt_i32_e32 vcc_lo, 5, v18
	v_cmp_eq_u32_e64 s0, 3, v18
	v_and_or_b32 v12, 0xffe, v15, v12
	v_lshrrev_b32_e32 v15, 16, v5
	v_lshrrev_b32_e32 v13, 16, v13
	s_delay_alu instid0(VALU_DEP_4) | instskip(NEXT) | instid1(VALU_DEP_3)
	s_or_b32 vcc_lo, s0, vcc_lo
	v_or_b32_e32 v19, 0x1000, v12
	s_wait_alu 0xfffe
	v_add_co_ci_u32_e32 v10, vcc_lo, 0, v10, vcc_lo
	v_cmp_ne_u32_e32 vcc_lo, 0, v2
	v_mul_f16_e32 v21, v40, v15
	v_lshrrev_b32_e32 v18, v4, v19
	v_and_or_b32 v6, 0x1ff, v7, v6
	v_lshl_or_b32 v23, v16, 12, v12
	s_wait_alu 0xfffd
	v_cndmask_b32_e64 v2, 0, 1, vcc_lo
	v_fmac_f16_e32 v21, v37, v5
	v_lshlrev_b32_e32 v4, v4, v18
	v_cmp_gt_i32_e32 vcc_lo, 31, v20
	v_mul_f16_e32 v5, v40, v5
	v_lshl_or_b32 v2, v2, 9, 0x7c00
	v_and_b32_e32 v11, 0xffff, v11
	v_bfe_u32 v22, v7, 20, 11
	s_delay_alu instid0(VALU_DEP_4) | instskip(NEXT) | instid1(VALU_DEP_3)
	v_fma_f16 v15, v37, v15, -v5
	v_lshl_or_b32 v17, v17, 16, v11
	v_cvt_f32_f16_e32 v11, v21
	s_wait_alu 0xfffd
	v_cndmask_b32_e32 v21, 0x7c00, v10, vcc_lo
	v_cmp_ne_u32_e32 vcc_lo, v4, v19
	v_lshrrev_b32_e32 v19, 8, v7
	v_lshrrev_b32_e32 v7, 16, v7
	v_cvt_f64_f32_e32 v[10:11], v11
	s_wait_alu 0xfffd
	v_cndmask_b32_e64 v4, 0, 1, vcc_lo
	v_cmp_ne_u32_e32 vcc_lo, 0, v6
	s_delay_alu instid0(VALU_DEP_2)
	v_or_b32_e32 v18, v18, v4
	s_wait_alu 0xfffd
	v_cndmask_b32_e64 v6, 0, 1, vcc_lo
	v_cmp_gt_i32_e32 vcc_lo, 1, v16
	v_mul_f64_e32 v[4:5], s[8:9], v[8:9]
	v_cvt_f32_f16_e32 v9, v15
	v_sub_nc_u32_e32 v8, 0x3f1, v22
	v_and_or_b32 v6, 0xffe, v19, v6
	s_wait_alu 0xfffd
	v_cndmask_b32_e32 v15, v23, v18, vcc_lo
	v_cmp_eq_u32_e32 vcc_lo, 0x40f, v20
	v_med3_i32 v19, v8, 0, 13
	v_or_b32_e32 v18, 0x1000, v6
	s_wait_alu 0xfffd
	v_dual_cndmask_b32 v20, v21, v2 :: v_dual_and_b32 v23, 7, v15
	v_add_co_u32 v2, vcc_lo, v0, s2
	v_lshrrev_b32_e32 v21, 16, v3
	s_wait_alu 0xfffd
	v_add_co_ci_u32_e32 v3, vcc_lo, s3, v1, vcc_lo
	v_cvt_f64_f32_e32 v[8:9], v9
	v_cmp_lt_i32_e32 vcc_lo, 5, v23
	v_cmp_eq_u32_e64 s0, 3, v23
	v_lshrrev_b32_e32 v15, 2, v15
	v_lshrrev_b32_e32 v24, v19, v18
	v_and_or_b32 v20, 0x8000, v21, v20
	s_delay_alu instid0(VALU_DEP_4)
	s_or_b32 vcc_lo, s0, vcc_lo
	s_wait_alu 0xfffe
	v_add_co_ci_u32_e32 v15, vcc_lo, 0, v15, vcc_lo
	v_lshlrev_b32_e32 v19, v19, v24
	v_cmp_ne_u32_e32 vcc_lo, 0, v12
	v_mul_f64_e32 v[10:11], s[8:9], v[10:11]
	s_delay_alu instid0(VALU_DEP_3)
	v_cmp_ne_u32_e64 s1, v19, v18
	s_wait_alu 0xfffd
	v_cndmask_b32_e64 v12, 0, 1, vcc_lo
	v_cmp_gt_i32_e32 vcc_lo, 31, v16
	s_wait_alu 0xf1ff
	v_cndmask_b32_e64 v18, 0, 1, s1
	s_delay_alu instid0(VALU_DEP_3)
	v_lshl_or_b32 v12, v12, 9, 0x7c00
	s_wait_alu 0xfffd
	v_cndmask_b32_e32 v15, 0x7c00, v15, vcc_lo
	v_add_nc_u32_e32 v19, 0xfffffc10, v22
	v_and_or_b32 v4, 0x1ff, v5, v4
	v_or_b32_e32 v18, v24, v18
	s_delay_alu instid0(VALU_DEP_3) | instskip(SKIP_2) | instid1(VALU_DEP_2)
	v_lshl_or_b32 v21, v19, 12, v6
	v_cmp_gt_i32_e32 vcc_lo, 1, v19
	s_wait_alu 0xfffd
	v_cndmask_b32_e32 v18, v21, v18, vcc_lo
	v_cmp_eq_u32_e32 vcc_lo, 0x40f, v16
	v_lshrrev_b32_e32 v16, 8, v5
	v_mul_f64_e32 v[8:9], s[8:9], v[8:9]
	v_bfe_u32 v21, v5, 20, 11
	v_lshrrev_b32_e32 v5, 16, v5
	s_wait_alu 0xfffd
	v_cndmask_b32_e32 v12, v15, v12, vcc_lo
	v_cmp_ne_u32_e32 vcc_lo, 0, v4
	s_delay_alu instid0(VALU_DEP_2)
	v_and_or_b32 v12, 0x8000, v13, v12
	v_and_b32_e32 v13, 0xffff, v20
	v_and_b32_e32 v15, 7, v18
	s_wait_alu 0xfffd
	v_cndmask_b32_e64 v4, 0, 1, vcc_lo
	v_and_or_b32 v10, 0x1ff, v11, v10
	v_lshl_or_b32 v12, v12, 16, v13
	v_cmp_lt_i32_e32 vcc_lo, 5, v15
	v_cmp_eq_u32_e64 s0, 3, v15
	v_lshrrev_b32_e32 v13, 2, v18
	v_and_or_b32 v4, 0xffe, v16, v4
	v_sub_nc_u32_e32 v16, 0x3f1, v21
	v_lshrrev_b32_e32 v20, 8, v11
	s_or_b32 vcc_lo, s0, vcc_lo
	v_bfe_u32 v22, v11, 20, 11
	s_wait_alu 0xfffe
	v_add_co_ci_u32_e32 v13, vcc_lo, 0, v13, vcc_lo
	v_or_b32_e32 v15, 0x1000, v4
	v_med3_i32 v16, v16, 0, 13
	v_cmp_ne_u32_e32 vcc_lo, 0, v6
	v_lshrrev_b32_e32 v11, 16, v11
	s_delay_alu instid0(VALU_DEP_3) | instskip(SKIP_3) | instid1(VALU_DEP_3)
	v_lshrrev_b32_e32 v18, v16, v15
	s_wait_alu 0xfffd
	v_cndmask_b32_e64 v6, 0, 1, vcc_lo
	v_cmp_gt_i32_e32 vcc_lo, 31, v19
	v_lshlrev_b32_e32 v16, v16, v18
	s_delay_alu instid0(VALU_DEP_3)
	v_lshl_or_b32 v6, v6, 9, 0x7c00
	s_wait_alu 0xfffd
	v_cndmask_b32_e32 v13, 0x7c00, v13, vcc_lo
	v_cmp_ne_u32_e32 vcc_lo, 0, v10
	v_and_or_b32 v8, 0x1ff, v9, v8
	s_wait_alu 0xfffd
	v_cndmask_b32_e64 v10, 0, 1, vcc_lo
	v_cmp_ne_u32_e32 vcc_lo, v16, v15
	v_add_nc_u32_e32 v16, 0xfffffc10, v21
	v_bfe_u32 v21, v9, 20, 11
	s_delay_alu instid0(VALU_DEP_4) | instskip(SKIP_4) | instid1(VALU_DEP_2)
	v_and_or_b32 v10, 0xffe, v20, v10
	s_wait_alu 0xfffd
	v_cndmask_b32_e64 v15, 0, 1, vcc_lo
	v_sub_nc_u32_e32 v20, 0x3f1, v22
	v_cmp_eq_u32_e32 vcc_lo, 0x40f, v19
	v_med3_i32 v19, v20, 0, 13
	s_wait_alu 0xfffd
	v_cndmask_b32_e32 v6, v13, v6, vcc_lo
	v_or_b32_e32 v13, v18, v15
	v_lshl_or_b32 v15, v16, 12, v4
	v_or_b32_e32 v18, 0x1000, v10
	v_cmp_gt_i32_e32 vcc_lo, 1, v16
	v_lshrrev_b32_e32 v20, 8, v9
	v_and_or_b32 v6, 0x8000, v7, v6
	s_wait_alu 0xfffd
	v_cndmask_b32_e32 v13, v15, v13, vcc_lo
	v_lshrrev_b32_e32 v15, v19, v18
	v_cmp_ne_u32_e32 vcc_lo, 0, v8
	v_and_b32_e32 v6, 0xffff, v6
	s_delay_alu instid0(VALU_DEP_4) | instskip(NEXT) | instid1(VALU_DEP_4)
	v_and_b32_e32 v23, 7, v13
	v_lshlrev_b32_e32 v19, v19, v15
	s_wait_alu 0xfffd
	v_cndmask_b32_e64 v8, 0, 1, vcc_lo
	v_lshrrev_b32_e32 v13, 2, v13
	v_cmp_lt_i32_e32 vcc_lo, 5, v23
	v_cmp_ne_u32_e64 s0, v19, v18
	s_delay_alu instid0(VALU_DEP_4)
	v_and_or_b32 v7, 0xffe, v20, v8
	v_sub_nc_u32_e32 v8, 0x3f1, v21
	v_add_nc_u32_e32 v20, 0xfffffc10, v22
	s_wait_alu 0xf1ff
	v_cndmask_b32_e64 v18, 0, 1, s0
	v_cmp_eq_u32_e64 s0, 3, v23
	v_or_b32_e32 v19, 0x1000, v7
	v_med3_i32 v8, v8, 0, 13
	v_lshl_or_b32 v22, v20, 12, v10
	v_or_b32_e32 v15, v15, v18
	s_or_b32 vcc_lo, s0, vcc_lo
	s_wait_alu 0xfffe
	v_add_co_ci_u32_e32 v13, vcc_lo, 0, v13, vcc_lo
	v_lshrrev_b32_e32 v18, v8, v19
	v_cmp_gt_i32_e32 vcc_lo, 1, v20
	s_wait_alu 0xfffd
	s_delay_alu instid0(VALU_DEP_2) | instskip(SKIP_3) | instid1(VALU_DEP_3)
	v_dual_cndmask_b32 v15, v22, v15 :: v_dual_lshlrev_b32 v8, v8, v18
	v_cmp_ne_u32_e32 vcc_lo, 0, v4
	s_wait_alu 0xfffd
	v_cndmask_b32_e64 v4, 0, 1, vcc_lo
	v_cmp_ne_u32_e32 vcc_lo, v8, v19
	v_add_nc_u32_e32 v19, 0xfffffc10, v21
	v_and_b32_e32 v21, 7, v15
	s_delay_alu instid0(VALU_DEP_4)
	v_lshl_or_b32 v4, v4, 9, 0x7c00
	s_wait_alu 0xfffd
	v_cndmask_b32_e64 v8, 0, 1, vcc_lo
	v_cmp_gt_i32_e32 vcc_lo, 31, v16
	v_cmp_gt_i32_e64 s1, 1, v19
	v_cmp_eq_u32_e64 s0, 3, v21
	s_delay_alu instid0(VALU_DEP_4)
	v_or_b32_e32 v8, v18, v8
	v_lshl_or_b32 v18, v19, 12, v7
	s_wait_alu 0xfffd
	v_cndmask_b32_e32 v13, 0x7c00, v13, vcc_lo
	v_cmp_lt_i32_e32 vcc_lo, 5, v21
	s_wait_alu 0xf1ff
	v_cndmask_b32_e64 v8, v18, v8, s1
	v_cmp_eq_u32_e64 s1, 0x40f, v16
	s_or_b32 vcc_lo, s0, vcc_lo
	s_delay_alu instid0(VALU_DEP_1)
	v_cndmask_b32_e64 v4, v13, v4, s1
	v_lshrrev_b32_e32 v13, 2, v15
	v_and_b32_e32 v15, 7, v8
	v_lshrrev_b32_e32 v8, 2, v8
	v_cmp_gt_i32_e64 s1, 31, v20
	s_wait_alu 0xfffe
	v_add_co_ci_u32_e32 v13, vcc_lo, 0, v13, vcc_lo
	v_cmp_ne_u32_e32 vcc_lo, 0, v10
	v_cmp_eq_u32_e64 s0, 3, v15
	s_wait_alu 0xf1ff
	s_delay_alu instid0(VALU_DEP_3) | instskip(SKIP_3) | instid1(VALU_DEP_2)
	v_cndmask_b32_e64 v13, 0x7c00, v13, s1
	s_wait_alu 0xfffd
	v_cndmask_b32_e64 v10, 0, 1, vcc_lo
	v_cmp_lt_i32_e32 vcc_lo, 5, v15
	v_lshl_or_b32 v10, v10, 9, 0x7c00
	s_or_b32 vcc_lo, s0, vcc_lo
	s_wait_alu 0xfffe
	v_add_co_ci_u32_e32 v8, vcc_lo, 0, v8, vcc_lo
	v_cmp_ne_u32_e32 vcc_lo, 0, v7
	s_wait_alu 0xfffd
	v_cndmask_b32_e64 v7, 0, 1, vcc_lo
	v_cmp_eq_u32_e32 vcc_lo, 0x40f, v20
	s_delay_alu instid0(VALU_DEP_2) | instskip(SKIP_4) | instid1(VALU_DEP_3)
	v_lshl_or_b32 v7, v7, 9, 0x7c00
	s_wait_alu 0xfffd
	v_cndmask_b32_e32 v10, v13, v10, vcc_lo
	v_cmp_gt_i32_e32 vcc_lo, 31, v19
	v_and_or_b32 v13, 0x8000, v5, v4
	v_and_or_b32 v10, 0x8000, v11, v10
	s_wait_alu 0xfffd
	v_cndmask_b32_e32 v8, 0x7c00, v8, vcc_lo
	v_cmp_eq_u32_e32 vcc_lo, 0x40f, v19
	v_lshl_or_b32 v11, v13, 16, v6
	s_wait_alu 0xfffd
	s_delay_alu instid0(VALU_DEP_3) | instskip(SKIP_4) | instid1(VALU_DEP_3)
	v_cndmask_b32_e32 v7, v8, v7, vcc_lo
	v_lshrrev_b32_e32 v8, 16, v9
	v_add_co_u32 v4, vcc_lo, v2, s2
	s_wait_alu 0xfffd
	v_add_co_ci_u32_e32 v5, vcc_lo, s3, v3, vcc_lo
	v_and_or_b32 v8, 0x8000, v8, v7
	v_and_b32_e32 v9, 0xffff, v10
	v_add_co_u32 v6, vcc_lo, v4, s2
	s_wait_alu 0xfffd
	v_add_co_ci_u32_e32 v7, vcc_lo, s3, v5, vcc_lo
	s_delay_alu instid0(VALU_DEP_3) | instskip(NEXT) | instid1(VALU_DEP_3)
	v_lshl_or_b32 v10, v8, 16, v9
	v_add_co_u32 v8, vcc_lo, v6, s2
	s_wait_alu 0xfffd
	s_delay_alu instid0(VALU_DEP_3)
	v_add_co_ci_u32_e32 v9, vcc_lo, s3, v7, vcc_lo
	global_store_b32 v[0:1], v14, off
	global_store_b32 v[2:3], v17, off
	;; [unrolled: 1-line block ×5, first 2 shown]
.LBB0_10:
	s_nop 0
	s_sendmsg sendmsg(MSG_DEALLOC_VGPRS)
	s_endpgm
	.section	.rodata,"a",@progbits
	.p2align	6, 0x0
	.amdhsa_kernel bluestein_single_fwd_len650_dim1_half_op_CI_CI
		.amdhsa_group_segment_fixed_size 7800
		.amdhsa_private_segment_fixed_size 0
		.amdhsa_kernarg_size 104
		.amdhsa_user_sgpr_count 2
		.amdhsa_user_sgpr_dispatch_ptr 0
		.amdhsa_user_sgpr_queue_ptr 0
		.amdhsa_user_sgpr_kernarg_segment_ptr 1
		.amdhsa_user_sgpr_dispatch_id 0
		.amdhsa_user_sgpr_private_segment_size 0
		.amdhsa_wavefront_size32 1
		.amdhsa_uses_dynamic_stack 0
		.amdhsa_enable_private_segment 0
		.amdhsa_system_sgpr_workgroup_id_x 1
		.amdhsa_system_sgpr_workgroup_id_y 0
		.amdhsa_system_sgpr_workgroup_id_z 0
		.amdhsa_system_sgpr_workgroup_info 0
		.amdhsa_system_vgpr_workitem_id 0
		.amdhsa_next_free_vgpr 230
		.amdhsa_next_free_sgpr 20
		.amdhsa_reserve_vcc 1
		.amdhsa_float_round_mode_32 0
		.amdhsa_float_round_mode_16_64 0
		.amdhsa_float_denorm_mode_32 3
		.amdhsa_float_denorm_mode_16_64 3
		.amdhsa_fp16_overflow 0
		.amdhsa_workgroup_processor_mode 1
		.amdhsa_memory_ordered 1
		.amdhsa_forward_progress 0
		.amdhsa_round_robin_scheduling 0
		.amdhsa_exception_fp_ieee_invalid_op 0
		.amdhsa_exception_fp_denorm_src 0
		.amdhsa_exception_fp_ieee_div_zero 0
		.amdhsa_exception_fp_ieee_overflow 0
		.amdhsa_exception_fp_ieee_underflow 0
		.amdhsa_exception_fp_ieee_inexact 0
		.amdhsa_exception_int_div_zero 0
	.end_amdhsa_kernel
	.text
.Lfunc_end0:
	.size	bluestein_single_fwd_len650_dim1_half_op_CI_CI, .Lfunc_end0-bluestein_single_fwd_len650_dim1_half_op_CI_CI
                                        ; -- End function
	.section	.AMDGPU.csdata,"",@progbits
; Kernel info:
; codeLenInByte = 21252
; NumSgprs: 22
; NumVgprs: 230
; ScratchSize: 0
; MemoryBound: 0
; FloatMode: 240
; IeeeMode: 1
; LDSByteSize: 7800 bytes/workgroup (compile time only)
; SGPRBlocks: 2
; VGPRBlocks: 28
; NumSGPRsForWavesPerEU: 22
; NumVGPRsForWavesPerEU: 230
; Occupancy: 6
; WaveLimiterHint : 1
; COMPUTE_PGM_RSRC2:SCRATCH_EN: 0
; COMPUTE_PGM_RSRC2:USER_SGPR: 2
; COMPUTE_PGM_RSRC2:TRAP_HANDLER: 0
; COMPUTE_PGM_RSRC2:TGID_X_EN: 1
; COMPUTE_PGM_RSRC2:TGID_Y_EN: 0
; COMPUTE_PGM_RSRC2:TGID_Z_EN: 0
; COMPUTE_PGM_RSRC2:TIDIG_COMP_CNT: 0
	.text
	.p2alignl 7, 3214868480
	.fill 96, 4, 3214868480
	.type	__hip_cuid_f89a8f85bf3d0bec,@object ; @__hip_cuid_f89a8f85bf3d0bec
	.section	.bss,"aw",@nobits
	.globl	__hip_cuid_f89a8f85bf3d0bec
__hip_cuid_f89a8f85bf3d0bec:
	.byte	0                               ; 0x0
	.size	__hip_cuid_f89a8f85bf3d0bec, 1

	.ident	"AMD clang version 19.0.0git (https://github.com/RadeonOpenCompute/llvm-project roc-6.4.0 25133 c7fe45cf4b819c5991fe208aaa96edf142730f1d)"
	.section	".note.GNU-stack","",@progbits
	.addrsig
	.addrsig_sym __hip_cuid_f89a8f85bf3d0bec
	.amdgpu_metadata
---
amdhsa.kernels:
  - .args:
      - .actual_access:  read_only
        .address_space:  global
        .offset:         0
        .size:           8
        .value_kind:     global_buffer
      - .actual_access:  read_only
        .address_space:  global
        .offset:         8
        .size:           8
        .value_kind:     global_buffer
      - .actual_access:  read_only
        .address_space:  global
        .offset:         16
        .size:           8
        .value_kind:     global_buffer
      - .actual_access:  read_only
        .address_space:  global
        .offset:         24
        .size:           8
        .value_kind:     global_buffer
      - .actual_access:  read_only
        .address_space:  global
        .offset:         32
        .size:           8
        .value_kind:     global_buffer
      - .offset:         40
        .size:           8
        .value_kind:     by_value
      - .address_space:  global
        .offset:         48
        .size:           8
        .value_kind:     global_buffer
      - .address_space:  global
        .offset:         56
        .size:           8
        .value_kind:     global_buffer
      - .address_space:  global
        .offset:         64
        .size:           8
        .value_kind:     global_buffer
      - .address_space:  global
        .offset:         72
        .size:           8
        .value_kind:     global_buffer
      - .offset:         80
        .size:           4
        .value_kind:     by_value
      - .address_space:  global
        .offset:         88
        .size:           8
        .value_kind:     global_buffer
      - .address_space:  global
        .offset:         96
        .size:           8
        .value_kind:     global_buffer
    .group_segment_fixed_size: 7800
    .kernarg_segment_align: 8
    .kernarg_segment_size: 104
    .language:       OpenCL C
    .language_version:
      - 2
      - 0
    .max_flat_workgroup_size: 195
    .name:           bluestein_single_fwd_len650_dim1_half_op_CI_CI
    .private_segment_fixed_size: 0
    .sgpr_count:     22
    .sgpr_spill_count: 0
    .symbol:         bluestein_single_fwd_len650_dim1_half_op_CI_CI.kd
    .uniform_work_group_size: 1
    .uses_dynamic_stack: false
    .vgpr_count:     230
    .vgpr_spill_count: 0
    .wavefront_size: 32
    .workgroup_processor_mode: 1
amdhsa.target:   amdgcn-amd-amdhsa--gfx1201
amdhsa.version:
  - 1
  - 2
...

	.end_amdgpu_metadata
